;; amdgpu-corpus repo=ROCm/rocFFT kind=compiled arch=gfx906 opt=O3
	.text
	.amdgcn_target "amdgcn-amd-amdhsa--gfx906"
	.amdhsa_code_object_version 6
	.protected	fft_rtc_back_len1190_factors_17_2_5_7_wgs_255_tpt_85_halfLds_sp_ip_CI_unitstride_sbrr_C2R_dirReg ; -- Begin function fft_rtc_back_len1190_factors_17_2_5_7_wgs_255_tpt_85_halfLds_sp_ip_CI_unitstride_sbrr_C2R_dirReg
	.globl	fft_rtc_back_len1190_factors_17_2_5_7_wgs_255_tpt_85_halfLds_sp_ip_CI_unitstride_sbrr_C2R_dirReg
	.p2align	8
	.type	fft_rtc_back_len1190_factors_17_2_5_7_wgs_255_tpt_85_halfLds_sp_ip_CI_unitstride_sbrr_C2R_dirReg,@function
fft_rtc_back_len1190_factors_17_2_5_7_wgs_255_tpt_85_halfLds_sp_ip_CI_unitstride_sbrr_C2R_dirReg: ; @fft_rtc_back_len1190_factors_17_2_5_7_wgs_255_tpt_85_halfLds_sp_ip_CI_unitstride_sbrr_C2R_dirReg
; %bb.0:
	s_load_dwordx2 s[2:3], s[4:5], 0x50
	s_load_dwordx4 s[8:11], s[4:5], 0x0
	s_load_dwordx2 s[12:13], s[4:5], 0x18
	v_mul_u32_u24_e32 v1, 0x304, v0
	v_lshrrev_b32_e32 v1, 16, v1
	v_mad_u64_u32 v[1:2], s[0:1], s6, 3, v[1:2]
	v_mov_b32_e32 v5, 0
	s_waitcnt lgkmcnt(0)
	v_cmp_lt_u64_e64 s[0:1], s[10:11], 2
	v_mov_b32_e32 v2, v5
	v_mov_b32_e32 v3, 0
	;; [unrolled: 1-line block ×3, first 2 shown]
	s_and_b64 vcc, exec, s[0:1]
	v_mov_b32_e32 v4, 0
	v_mov_b32_e32 v9, v1
	s_cbranch_vccnz .LBB0_8
; %bb.1:
	s_load_dwordx2 s[0:1], s[4:5], 0x10
	s_add_u32 s6, s12, 8
	s_addc_u32 s7, s13, 0
	v_mov_b32_e32 v3, 0
	v_mov_b32_e32 v8, v2
	s_waitcnt lgkmcnt(0)
	s_add_u32 s16, s0, 8
	s_mov_b64 s[14:15], 1
	v_mov_b32_e32 v4, 0
	s_addc_u32 s17, s1, 0
	v_mov_b32_e32 v7, v1
.LBB0_2:                                ; =>This Inner Loop Header: Depth=1
	s_load_dwordx2 s[18:19], s[16:17], 0x0
                                        ; implicit-def: $vgpr9_vgpr10
	s_waitcnt lgkmcnt(0)
	v_or_b32_e32 v6, s19, v8
	v_cmp_ne_u64_e32 vcc, 0, v[5:6]
	s_and_saveexec_b64 s[0:1], vcc
	s_xor_b64 s[20:21], exec, s[0:1]
	s_cbranch_execz .LBB0_4
; %bb.3:                                ;   in Loop: Header=BB0_2 Depth=1
	v_cvt_f32_u32_e32 v2, s18
	v_cvt_f32_u32_e32 v6, s19
	s_sub_u32 s0, 0, s18
	s_subb_u32 s1, 0, s19
	v_mac_f32_e32 v2, 0x4f800000, v6
	v_rcp_f32_e32 v2, v2
	v_mul_f32_e32 v2, 0x5f7ffffc, v2
	v_mul_f32_e32 v6, 0x2f800000, v2
	v_trunc_f32_e32 v6, v6
	v_mac_f32_e32 v2, 0xcf800000, v6
	v_cvt_u32_f32_e32 v6, v6
	v_cvt_u32_f32_e32 v2, v2
	v_mul_lo_u32 v9, s0, v6
	v_mul_hi_u32 v10, s0, v2
	v_mul_lo_u32 v12, s1, v2
	v_mul_lo_u32 v11, s0, v2
	v_add_u32_e32 v9, v10, v9
	v_add_u32_e32 v9, v9, v12
	v_mul_hi_u32 v10, v2, v11
	v_mul_lo_u32 v12, v2, v9
	v_mul_hi_u32 v14, v2, v9
	v_mul_hi_u32 v13, v6, v11
	v_mul_lo_u32 v11, v6, v11
	v_mul_hi_u32 v15, v6, v9
	v_add_co_u32_e32 v10, vcc, v10, v12
	v_addc_co_u32_e32 v12, vcc, 0, v14, vcc
	v_mul_lo_u32 v9, v6, v9
	v_add_co_u32_e32 v10, vcc, v10, v11
	v_addc_co_u32_e32 v10, vcc, v12, v13, vcc
	v_addc_co_u32_e32 v11, vcc, 0, v15, vcc
	v_add_co_u32_e32 v9, vcc, v10, v9
	v_addc_co_u32_e32 v10, vcc, 0, v11, vcc
	v_add_co_u32_e32 v2, vcc, v2, v9
	v_addc_co_u32_e32 v6, vcc, v6, v10, vcc
	v_mul_lo_u32 v9, s0, v6
	v_mul_hi_u32 v10, s0, v2
	v_mul_lo_u32 v11, s1, v2
	v_mul_lo_u32 v12, s0, v2
	v_add_u32_e32 v9, v10, v9
	v_add_u32_e32 v9, v9, v11
	v_mul_lo_u32 v13, v2, v9
	v_mul_hi_u32 v14, v2, v12
	v_mul_hi_u32 v15, v2, v9
	;; [unrolled: 1-line block ×3, first 2 shown]
	v_mul_lo_u32 v12, v6, v12
	v_mul_hi_u32 v10, v6, v9
	v_add_co_u32_e32 v13, vcc, v14, v13
	v_addc_co_u32_e32 v14, vcc, 0, v15, vcc
	v_mul_lo_u32 v9, v6, v9
	v_add_co_u32_e32 v12, vcc, v13, v12
	v_addc_co_u32_e32 v11, vcc, v14, v11, vcc
	v_addc_co_u32_e32 v10, vcc, 0, v10, vcc
	v_add_co_u32_e32 v9, vcc, v11, v9
	v_addc_co_u32_e32 v10, vcc, 0, v10, vcc
	v_add_co_u32_e32 v2, vcc, v2, v9
	v_addc_co_u32_e32 v6, vcc, v6, v10, vcc
	v_mad_u64_u32 v[9:10], s[0:1], v7, v6, 0
	v_mul_hi_u32 v11, v7, v2
	v_add_co_u32_e32 v13, vcc, v11, v9
	v_addc_co_u32_e32 v14, vcc, 0, v10, vcc
	v_mad_u64_u32 v[9:10], s[0:1], v8, v2, 0
	v_mad_u64_u32 v[11:12], s[0:1], v8, v6, 0
	v_add_co_u32_e32 v2, vcc, v13, v9
	v_addc_co_u32_e32 v2, vcc, v14, v10, vcc
	v_addc_co_u32_e32 v6, vcc, 0, v12, vcc
	v_add_co_u32_e32 v2, vcc, v2, v11
	v_addc_co_u32_e32 v6, vcc, 0, v6, vcc
	v_mul_lo_u32 v11, s19, v2
	v_mul_lo_u32 v12, s18, v6
	v_mad_u64_u32 v[9:10], s[0:1], s18, v2, 0
	v_add3_u32 v10, v10, v12, v11
	v_sub_u32_e32 v11, v8, v10
	v_mov_b32_e32 v12, s19
	v_sub_co_u32_e32 v9, vcc, v7, v9
	v_subb_co_u32_e64 v11, s[0:1], v11, v12, vcc
	v_subrev_co_u32_e64 v12, s[0:1], s18, v9
	v_subbrev_co_u32_e64 v11, s[0:1], 0, v11, s[0:1]
	v_cmp_le_u32_e64 s[0:1], s19, v11
	v_cndmask_b32_e64 v13, 0, -1, s[0:1]
	v_cmp_le_u32_e64 s[0:1], s18, v12
	v_cndmask_b32_e64 v12, 0, -1, s[0:1]
	v_cmp_eq_u32_e64 s[0:1], s19, v11
	v_cndmask_b32_e64 v11, v13, v12, s[0:1]
	v_add_co_u32_e64 v12, s[0:1], 2, v2
	v_addc_co_u32_e64 v13, s[0:1], 0, v6, s[0:1]
	v_add_co_u32_e64 v14, s[0:1], 1, v2
	v_addc_co_u32_e64 v15, s[0:1], 0, v6, s[0:1]
	v_subb_co_u32_e32 v10, vcc, v8, v10, vcc
	v_cmp_ne_u32_e64 s[0:1], 0, v11
	v_cmp_le_u32_e32 vcc, s19, v10
	v_cndmask_b32_e64 v11, v15, v13, s[0:1]
	v_cndmask_b32_e64 v13, 0, -1, vcc
	v_cmp_le_u32_e32 vcc, s18, v9
	v_cndmask_b32_e64 v9, 0, -1, vcc
	v_cmp_eq_u32_e32 vcc, s19, v10
	v_cndmask_b32_e32 v9, v13, v9, vcc
	v_cmp_ne_u32_e32 vcc, 0, v9
	v_cndmask_b32_e32 v10, v6, v11, vcc
	v_cndmask_b32_e64 v6, v14, v12, s[0:1]
	v_cndmask_b32_e32 v9, v2, v6, vcc
.LBB0_4:                                ;   in Loop: Header=BB0_2 Depth=1
	s_andn2_saveexec_b64 s[0:1], s[20:21]
	s_cbranch_execz .LBB0_6
; %bb.5:                                ;   in Loop: Header=BB0_2 Depth=1
	v_cvt_f32_u32_e32 v2, s18
	s_sub_i32 s20, 0, s18
	v_rcp_iflag_f32_e32 v2, v2
	v_mul_f32_e32 v2, 0x4f7ffffe, v2
	v_cvt_u32_f32_e32 v2, v2
	v_mul_lo_u32 v6, s20, v2
	v_mul_hi_u32 v6, v2, v6
	v_add_u32_e32 v2, v2, v6
	v_mul_hi_u32 v2, v7, v2
	v_mul_lo_u32 v6, v2, s18
	v_add_u32_e32 v9, 1, v2
	v_sub_u32_e32 v6, v7, v6
	v_subrev_u32_e32 v10, s18, v6
	v_cmp_le_u32_e32 vcc, s18, v6
	v_cndmask_b32_e32 v6, v6, v10, vcc
	v_cndmask_b32_e32 v2, v2, v9, vcc
	v_add_u32_e32 v9, 1, v2
	v_cmp_le_u32_e32 vcc, s18, v6
	v_cndmask_b32_e32 v9, v2, v9, vcc
	v_mov_b32_e32 v10, v5
.LBB0_6:                                ;   in Loop: Header=BB0_2 Depth=1
	s_or_b64 exec, exec, s[0:1]
	v_mul_lo_u32 v2, v10, s18
	v_mul_lo_u32 v6, v9, s19
	v_mad_u64_u32 v[11:12], s[0:1], v9, s18, 0
	s_load_dwordx2 s[0:1], s[6:7], 0x0
	s_add_u32 s14, s14, 1
	v_add3_u32 v2, v12, v6, v2
	v_sub_co_u32_e32 v6, vcc, v7, v11
	v_subb_co_u32_e32 v2, vcc, v8, v2, vcc
	s_waitcnt lgkmcnt(0)
	v_mul_lo_u32 v2, s0, v2
	v_mul_lo_u32 v7, s1, v6
	v_mad_u64_u32 v[3:4], s[0:1], s0, v6, v[3:4]
	s_addc_u32 s15, s15, 0
	s_add_u32 s6, s6, 8
	v_add3_u32 v4, v7, v4, v2
	v_mov_b32_e32 v6, s10
	v_mov_b32_e32 v7, s11
	s_addc_u32 s7, s7, 0
	v_cmp_ge_u64_e32 vcc, s[14:15], v[6:7]
	s_add_u32 s16, s16, 8
	s_addc_u32 s17, s17, 0
	s_cbranch_vccnz .LBB0_8
; %bb.7:                                ;   in Loop: Header=BB0_2 Depth=1
	v_mov_b32_e32 v7, v9
	v_mov_b32_e32 v8, v10
	s_branch .LBB0_2
.LBB0_8:
	s_lshl_b64 s[0:1], s[10:11], 3
	s_add_u32 s0, s12, s0
	s_addc_u32 s1, s13, s1
	s_load_dwordx2 s[0:1], s[0:1], 0x0
	s_mov_b32 s6, 0xaaaaaaab
	v_mul_hi_u32 v5, v1, s6
	s_waitcnt lgkmcnt(0)
	v_mul_lo_u32 v6, s0, v10
	v_mul_lo_u32 v7, s1, v9
	v_mad_u64_u32 v[2:3], s[0:1], s0, v9, v[3:4]
	s_load_dwordx2 s[0:1], s[4:5], 0x20
	s_mov_b32 s4, 0x3030304
	v_lshrrev_b32_e32 v4, 1, v5
	v_mul_hi_u32 v5, v0, s4
	v_lshl_add_u32 v4, v4, 1, v4
	v_add3_u32 v3, v7, v3, v6
	v_sub_u32_e32 v1, v1, v4
	v_mul_u32_u24_e32 v4, 0x4a7, v1
	s_waitcnt lgkmcnt(0)
	v_cmp_gt_u64_e64 s[0:1], s[0:1], v[9:10]
	v_mul_u32_u24_e32 v1, 0x55, v5
	v_lshlrev_b64 v[34:35], 3, v[2:3]
	v_sub_u32_e32 v32, v0, v1
	v_lshlrev_b32_e32 v52, 3, v4
	s_and_saveexec_b64 s[4:5], s[0:1]
	s_cbranch_execz .LBB0_12
; %bb.9:
	v_mov_b32_e32 v33, 0
	v_mov_b32_e32 v0, s3
	v_add_co_u32_e32 v1, vcc, s2, v34
	v_lshlrev_b64 v[2:3], 3, v[32:33]
	v_addc_co_u32_e32 v0, vcc, v0, v35, vcc
	v_add_co_u32_e32 v2, vcc, v1, v2
	v_addc_co_u32_e32 v3, vcc, v0, v3, vcc
	s_movk_i32 s6, 0x1000
	v_add_co_u32_e32 v5, vcc, s6, v2
	v_addc_co_u32_e32 v6, vcc, 0, v3, vcc
	global_load_dwordx2 v[7:8], v[2:3], off offset:2720
	global_load_dwordx2 v[9:10], v[2:3], off offset:3400
	;; [unrolled: 1-line block ×8, first 2 shown]
	global_load_dwordx2 v[23:24], v[2:3], off
	global_load_dwordx2 v[25:26], v[2:3], off offset:680
	global_load_dwordx2 v[27:28], v[2:3], off offset:1360
	;; [unrolled: 1-line block ×3, first 2 shown]
	v_add_co_u32_e32 v2, vcc, 0x2000, v2
	v_addc_co_u32_e32 v3, vcc, 0, v3, vcc
	global_load_dwordx2 v[36:37], v[5:6], off offset:4064
	global_load_dwordx2 v[38:39], v[2:3], off offset:648
	v_lshlrev_b32_e32 v2, 3, v32
	s_movk_i32 s6, 0x54
	v_add3_u32 v2, 0, v52, v2
	v_add_u32_e32 v3, 0x800, v2
	v_cmp_eq_u32_e32 vcc, s6, v32
	v_add_u32_e32 v5, 0xc00, v2
	v_add_u32_e32 v6, 0x1000, v2
	;; [unrolled: 1-line block ×4, first 2 shown]
	s_waitcnt vmcnt(12)
	ds_write2_b64 v3, v[7:8], v[9:10] offset0:84 offset1:169
	s_waitcnt vmcnt(4)
	ds_write2_b64 v2, v[23:24], v[25:26] offset1:85
	s_waitcnt vmcnt(2)
	ds_write2_b64 v2, v[27:28], v[29:30] offset0:170 offset1:255
	ds_write2_b64 v5, v[11:12], v[13:14] offset0:126 offset1:211
	;; [unrolled: 1-line block ×4, first 2 shown]
	s_waitcnt vmcnt(0)
	ds_write2_b64 v33, v[36:37], v[38:39] offset0:124 offset1:209
	s_and_saveexec_b64 s[6:7], vcc
	s_cbranch_execz .LBB0_11
; %bb.10:
	v_add_co_u32_e32 v5, vcc, 0x2000, v1
	v_addc_co_u32_e32 v6, vcc, 0, v0, vcc
	global_load_dwordx2 v[0:1], v[5:6], off offset:1328
	v_mov_b32_e32 v32, 0x54
	s_waitcnt vmcnt(0)
	ds_write_b64 v2, v[0:1] offset:8848
.LBB0_11:
	s_or_b64 exec, exec, s[6:7]
.LBB0_12:
	s_or_b64 exec, exec, s[4:5]
	v_lshl_add_u32 v50, v4, 3, 0
	v_lshlrev_b32_e32 v0, 3, v32
	v_add_u32_e32 v51, v50, v0
	s_waitcnt lgkmcnt(0)
	s_barrier
	v_sub_u32_e32 v5, v50, v0
	ds_read_b32 v6, v51
	ds_read_b32 v7, v5 offset:9520
	s_add_u32 s6, s8, 0x24a8
	s_addc_u32 s7, s9, 0
	v_cmp_ne_u32_e32 vcc, 0, v32
                                        ; implicit-def: $vgpr2_vgpr3
	s_waitcnt lgkmcnt(0)
	v_add_f32_e32 v0, v7, v6
	v_sub_f32_e32 v1, v6, v7
	s_and_saveexec_b64 s[4:5], vcc
	s_xor_b64 s[4:5], exec, s[4:5]
	s_cbranch_execz .LBB0_14
; %bb.13:
	v_mov_b32_e32 v33, 0
	v_lshlrev_b64 v[0:1], 3, v[32:33]
	v_mov_b32_e32 v2, s7
	v_add_co_u32_e32 v0, vcc, s6, v0
	v_addc_co_u32_e32 v1, vcc, v2, v1, vcc
	global_load_dwordx2 v[2:3], v[0:1], off
	ds_read_b32 v0, v5 offset:9524
	ds_read_b32 v1, v51 offset:4
	v_add_f32_e32 v8, v7, v6
	v_sub_f32_e32 v9, v6, v7
	s_waitcnt lgkmcnt(0)
	v_add_f32_e32 v10, v0, v1
	v_sub_f32_e32 v0, v1, v0
	s_waitcnt vmcnt(0)
	v_fma_f32 v11, v9, v3, v8
	v_fma_f32 v1, v10, v3, v0
	v_fma_f32 v6, -v9, v3, v8
	v_fma_f32 v7, v10, v3, -v0
	v_fma_f32 v0, -v2, v10, v11
	v_fmac_f32_e32 v1, v9, v2
	v_fmac_f32_e32 v6, v2, v10
	;; [unrolled: 1-line block ×3, first 2 shown]
	v_mov_b32_e32 v2, v32
	ds_write_b64 v5, v[6:7] offset:9520
	v_mov_b32_e32 v3, v33
.LBB0_14:
	s_andn2_saveexec_b64 s[4:5], s[4:5]
	s_cbranch_execz .LBB0_16
; %bb.15:
	ds_read_b64 v[2:3], v50 offset:4760
	s_waitcnt lgkmcnt(0)
	v_add_f32_e32 v6, v2, v2
	v_mul_f32_e32 v7, -2.0, v3
	v_mov_b32_e32 v2, 0
	v_mov_b32_e32 v3, 0
	ds_write_b64 v50, v[6:7] offset:4760
.LBB0_16:
	s_or_b64 exec, exec, s[4:5]
	v_lshlrev_b64 v[2:3], 3, v[2:3]
	v_mov_b32_e32 v6, s7
	v_add_co_u32_e32 v2, vcc, s6, v2
	v_addc_co_u32_e32 v3, vcc, v6, v3, vcc
	global_load_dwordx2 v[6:7], v[2:3], off offset:680
	global_load_dwordx2 v[8:9], v[2:3], off offset:1360
	;; [unrolled: 1-line block ×4, first 2 shown]
	ds_write_b64 v51, v[0:1]
	ds_read_b64 v[0:1], v51 offset:680
	ds_read_b64 v[14:15], v5 offset:8840
	global_load_dwordx2 v[16:17], v[2:3], off offset:3400
	s_mov_b32 s6, 0x3ee437d1
	s_mov_b32 s7, 0xbf1a4643
	;; [unrolled: 1-line block ×3, first 2 shown]
	s_waitcnt lgkmcnt(0)
	v_add_f32_e32 v18, v0, v14
	v_add_f32_e32 v19, v15, v1
	v_sub_f32_e32 v20, v0, v14
	v_sub_f32_e32 v14, v1, v15
	s_mov_b32 s11, 0xbe8c1d8e
	s_mov_b32 s12, 0x3f3d2fb0
	;; [unrolled: 1-line block ×5, first 2 shown]
	s_movk_i32 s4, 0x46
	v_cmp_gt_u32_e32 vcc, s4, v32
	s_waitcnt vmcnt(4)
	v_fma_f32 v21, v20, v7, v18
	v_fma_f32 v15, v19, v7, v14
	v_fma_f32 v0, -v20, v7, v18
	v_fma_f32 v1, v19, v7, -v14
	v_fma_f32 v14, -v6, v19, v21
	v_fmac_f32_e32 v15, v20, v6
	v_fmac_f32_e32 v0, v6, v19
	;; [unrolled: 1-line block ×3, first 2 shown]
	ds_write_b64 v51, v[14:15] offset:680
	ds_write_b64 v5, v[0:1] offset:8840
	ds_read_b64 v[0:1], v51 offset:1360
	ds_read_b64 v[6:7], v5 offset:8160
	global_load_dwordx2 v[2:3], v[2:3], off offset:4080
	s_waitcnt lgkmcnt(0)
	v_add_f32_e32 v14, v0, v6
	v_add_f32_e32 v15, v7, v1
	v_sub_f32_e32 v18, v0, v6
	v_sub_f32_e32 v6, v1, v7
	s_waitcnt vmcnt(4)
	v_fma_f32 v19, v18, v9, v14
	v_fma_f32 v7, v15, v9, v6
	v_fma_f32 v0, -v18, v9, v14
	v_fma_f32 v1, v15, v9, -v6
	v_fma_f32 v6, -v8, v15, v19
	v_fmac_f32_e32 v7, v18, v8
	v_fmac_f32_e32 v0, v8, v15
	v_fmac_f32_e32 v1, v18, v8
	ds_write_b64 v51, v[6:7] offset:1360
	ds_write_b64 v5, v[0:1] offset:8160
	ds_read_b64 v[0:1], v51 offset:2040
	ds_read_b64 v[6:7], v5 offset:7480
	s_waitcnt lgkmcnt(0)
	v_add_f32_e32 v8, v0, v6
	v_add_f32_e32 v9, v7, v1
	v_sub_f32_e32 v14, v0, v6
	v_sub_f32_e32 v6, v1, v7
	s_waitcnt vmcnt(3)
	v_fma_f32 v15, v14, v11, v8
	v_fma_f32 v7, v9, v11, v6
	v_fma_f32 v0, -v14, v11, v8
	v_fma_f32 v1, v9, v11, -v6
	v_fma_f32 v6, -v10, v9, v15
	v_fmac_f32_e32 v7, v14, v10
	v_fmac_f32_e32 v0, v10, v9
	v_fmac_f32_e32 v1, v14, v10
	ds_write_b64 v51, v[6:7] offset:2040
	ds_write_b64 v5, v[0:1] offset:7480
	ds_read_b64 v[0:1], v51 offset:2720
	ds_read_b64 v[6:7], v5 offset:6800
	;; [unrolled: 18-line block ×4, first 2 shown]
	v_lshl_add_u32 v8, v32, 3, 0
	v_lshl_add_u32 v33, v4, 3, v8
	v_add_u32_e32 v4, 0x2000, v33
	v_add_u32_e32 v56, 0x400, v33
	s_waitcnt lgkmcnt(0)
	v_add_f32_e32 v8, v0, v6
	v_add_f32_e32 v9, v7, v1
	v_sub_f32_e32 v10, v0, v6
	v_sub_f32_e32 v0, v1, v7
	s_waitcnt vmcnt(0)
	v_fma_f32 v11, v10, v3, v8
	v_fma_f32 v1, v9, v3, v0
	v_fma_f32 v6, -v10, v3, v8
	v_fma_f32 v7, v9, v3, -v0
	v_fma_f32 v0, -v2, v9, v11
	v_fmac_f32_e32 v1, v10, v2
	v_fmac_f32_e32 v6, v2, v9
	;; [unrolled: 1-line block ×3, first 2 shown]
	ds_write_b64 v51, v[0:1] offset:4080
	ds_write_b64 v5, v[6:7] offset:5440
	s_waitcnt lgkmcnt(0)
	s_barrier
	s_barrier
	ds_read2_b64 v[16:19], v33 offset0:70 offset1:140
	ds_read2_b64 v[0:3], v4 offset0:26 offset1:96
	ds_read_b64 v[38:39], v51
	v_add_u32_e32 v53, 0x1800, v33
	v_add_u32_e32 v54, 0x800, v33
	v_add_u32_e32 v55, 0x1000, v33
	s_waitcnt lgkmcnt(1)
	v_sub_f32_e32 v74, v17, v3
	v_add_f32_e32 v75, v3, v17
	v_add_f32_e32 v57, v2, v16
	v_sub_f32_e32 v73, v19, v1
	v_mul_f32_e32 v90, 0xbf65296c, v74
	v_mul_f32_e32 v92, 0x3ee437d1, v75
	v_add_f32_e32 v58, v0, v18
	v_sub_f32_e32 v59, v16, v2
	v_mul_f32_e32 v89, 0xbf4c4adb, v73
	v_fma_f32 v4, v57, s6, -v90
	v_mov_b32_e32 v6, v92
	v_fma_f32 v5, v58, s7, -v89
	s_waitcnt lgkmcnt(0)
	v_add_f32_e32 v4, v38, v4
	v_fmac_f32_e32 v6, 0xbf65296c, v59
	v_add_f32_e32 v8, v5, v4
	v_add_f32_e32 v9, v39, v6
	ds_read2_b64 v[20:23], v56 offset0:82 offset1:152
	ds_read2_b64 v[4:7], v53 offset0:142 offset1:212
	v_add_f32_e32 v77, v1, v19
	v_mul_f32_e32 v93, 0xbf1a4643, v77
	v_sub_f32_e32 v61, v18, v0
	v_mov_b32_e32 v10, v93
	s_waitcnt lgkmcnt(0)
	v_sub_f32_e32 v76, v21, v7
	v_fmac_f32_e32 v10, 0xbf4c4adb, v61
	v_add_f32_e32 v60, v6, v20
	v_mul_f32_e32 v91, 0x3e3c28d5, v76
	v_add_f32_e32 v79, v7, v21
	v_add_f32_e32 v9, v10, v9
	v_fma_f32 v10, v60, s10, -v91
	v_mul_f32_e32 v95, 0xbf7ba420, v79
	v_add_f32_e32 v8, v10, v8
	v_sub_f32_e32 v63, v20, v6
	v_mov_b32_e32 v10, v95
	v_sub_f32_e32 v78, v23, v5
	v_fmac_f32_e32 v10, 0x3e3c28d5, v63
	v_add_f32_e32 v62, v4, v22
	v_mul_f32_e32 v94, 0x3f763a35, v78
	v_add_f32_e32 v12, v10, v9
	v_fma_f32 v9, v62, s11, -v94
	v_add_f32_e32 v13, v9, v8
	ds_read2_b64 v[24:27], v54 offset0:94 offset1:164
	ds_read2_b64 v[8:11], v53 offset0:2 offset1:72
	v_add_f32_e32 v81, v5, v23
	v_mul_f32_e32 v97, 0xbe8c1d8e, v81
	v_sub_f32_e32 v65, v22, v4
	v_mov_b32_e32 v14, v97
	s_waitcnt lgkmcnt(0)
	v_sub_f32_e32 v80, v25, v11
	v_fmac_f32_e32 v14, 0x3f763a35, v65
	v_add_f32_e32 v64, v10, v24
	v_mul_f32_e32 v96, 0x3f2c7751, v80
	v_add_f32_e32 v83, v11, v25
	v_add_f32_e32 v12, v14, v12
	v_fma_f32 v14, v64, s12, -v96
	v_mul_f32_e32 v99, 0x3f3d2fb0, v83
	v_add_f32_e32 v13, v14, v13
	v_sub_f32_e32 v67, v24, v10
	v_mov_b32_e32 v14, v99
	v_sub_f32_e32 v82, v27, v9
	v_fmac_f32_e32 v14, 0x3f2c7751, v67
	v_add_f32_e32 v66, v8, v26
	v_mul_f32_e32 v98, 0xbeb8f4ab, v82
	v_add_f32_e32 v36, v14, v12
	v_fma_f32 v12, v66, s13, -v98
	v_add_f32_e32 v37, v12, v13
	v_add_u32_e32 v12, 0xc00, v33
	ds_read2_b64 v[28:31], v12 offset0:106 offset1:176
	ds_read2_b64 v[12:15], v55 offset0:118 offset1:188
	v_add_f32_e32 v86, v9, v27
	v_mul_f32_e32 v101, 0x3f6eb680, v86
	v_sub_f32_e32 v69, v26, v8
	v_mov_b32_e32 v40, v101
	s_waitcnt lgkmcnt(0)
	v_sub_f32_e32 v84, v29, v15
	v_fmac_f32_e32 v40, 0xbeb8f4ab, v69
	v_add_f32_e32 v68, v14, v28
	v_mul_f32_e32 v100, 0xbf7ee86f, v84
	v_add_f32_e32 v88, v15, v29
	v_add_f32_e32 v36, v40, v36
	v_fma_f32 v40, v68, s14, -v100
	v_mul_f32_e32 v106, 0x3dbcf732, v88
	v_add_f32_e32 v37, v40, v37
	v_sub_f32_e32 v71, v28, v14
	v_mov_b32_e32 v40, v106
	v_sub_f32_e32 v85, v31, v13
	v_fmac_f32_e32 v40, 0xbf7ee86f, v71
	v_add_f32_e32 v70, v12, v30
	v_mul_f32_e32 v102, 0xbf06c442, v85
	v_add_f32_e32 v87, v13, v31
	v_add_f32_e32 v40, v40, v36
	v_fma_f32 v36, v70, s15, -v102
	v_mul_f32_e32 v116, 0xbf59a7d5, v87
	v_add_f32_e32 v36, v36, v37
	v_sub_f32_e32 v72, v30, v12
	v_mov_b32_e32 v37, v116
	v_fmac_f32_e32 v37, 0xbf06c442, v72
	v_add_f32_e32 v37, v37, v40
	s_barrier
	s_and_saveexec_b64 s[4:5], vcc
	s_cbranch_execz .LBB0_18
; %bb.17:
	v_mul_f32_e32 v48, 0xbf4c4adb, v59
	v_mov_b32_e32 v40, v48
	v_mul_f32_e32 v49, 0x3f763a35, v61
	v_fmac_f32_e32 v40, 0xbf1a4643, v75
	v_mov_b32_e32 v41, v49
	v_add_f32_e32 v40, v39, v40
	v_fmac_f32_e32 v41, 0xbe8c1d8e, v77
	v_mul_f32_e32 v121, 0xbeb8f4ab, v63
	v_add_f32_e32 v40, v41, v40
	v_mov_b32_e32 v41, v121
	v_fmac_f32_e32 v41, 0x3f6eb680, v79
	v_mul_f32_e32 v122, 0xbf06c442, v65
	v_add_f32_e32 v40, v41, v40
	v_mov_b32_e32 v41, v122
	;; [unrolled: 4-line block ×4, first 2 shown]
	v_fma_f32 v48, v75, s7, -v48
	v_fmac_f32_e32 v41, 0x3f3d2fb0, v86
	v_mul_f32_e32 v125, 0xbe3c28d5, v71
	v_add_f32_e32 v48, v39, v48
	v_fma_f32 v49, v77, s11, -v49
	v_add_f32_e32 v40, v41, v40
	v_mov_b32_e32 v41, v125
	v_add_f32_e32 v48, v49, v48
	v_fma_f32 v49, v79, s13, -v121
	v_fmac_f32_e32 v41, 0xbf7ba420, v88
	v_mul_f32_e32 v126, 0x3f65296c, v72
	v_add_f32_e32 v48, v49, v48
	v_fma_f32 v49, v81, s15, -v122
	v_add_f32_e32 v40, v41, v40
	v_mov_b32_e32 v41, v126
	v_add_f32_e32 v48, v49, v48
	v_fma_f32 v49, v83, s14, -v123
	v_fmac_f32_e32 v41, 0x3ee437d1, v87
	v_mul_f32_e32 v127, 0xbf4c4adb, v74
	v_add_f32_e32 v48, v49, v48
	v_fma_f32 v49, v86, s12, -v124
	v_add_f32_e32 v41, v41, v40
	v_fma_f32 v40, v57, s7, -v127
	v_mul_f32_e32 v128, 0x3f763a35, v73
	v_add_f32_e32 v48, v49, v48
	v_fma_f32 v49, v88, s10, -v125
	v_fmac_f32_e32 v127, 0xbf1a4643, v57
	v_add_f32_e32 v40, v38, v40
	v_fma_f32 v42, v58, s11, -v128
	v_mul_f32_e32 v129, 0xbeb8f4ab, v76
	v_add_f32_e32 v48, v49, v48
	v_add_f32_e32 v49, v38, v127
	v_fmac_f32_e32 v128, 0xbe8c1d8e, v58
	v_add_f32_e32 v40, v42, v40
	v_fma_f32 v42, v60, s13, -v129
	v_mul_f32_e32 v130, 0xbf06c442, v78
	v_add_f32_e32 v49, v128, v49
	v_fmac_f32_e32 v129, 0x3f6eb680, v60
	v_add_f32_e32 v40, v42, v40
	v_fma_f32 v42, v62, s15, -v130
	v_mul_f32_e32 v131, 0x3f7ee86f, v80
	;; [unrolled: 5-line block ×3, first 2 shown]
	v_add_f32_e32 v49, v130, v49
	v_fmac_f32_e32 v131, 0x3dbcf732, v64
	v_add_f32_e32 v40, v42, v40
	v_fma_f32 v42, v66, s12, -v132
	v_add_f32_e32 v121, v131, v49
	v_fma_f32 v49, v87, s6, -v126
	v_fmac_f32_e32 v132, 0x3f3d2fb0, v66
	v_add_f32_e32 v49, v49, v48
	v_add_f32_e32 v48, v132, v121
	v_mul_f32_e32 v121, 0xbe8c1d8e, v75
	v_add_f32_e32 v16, v38, v16
	v_mov_b32_e32 v122, v121
	v_add_f32_e32 v17, v39, v17
	v_add_f32_e32 v16, v16, v18
	v_mul_f32_e32 v18, 0xbf59a7d5, v77
	v_fmac_f32_e32 v122, 0x3f763a35, v59
	v_add_f32_e32 v17, v17, v19
	v_mov_b32_e32 v19, v18
	v_add_f32_e32 v122, v39, v122
	v_fmac_f32_e32 v19, 0xbf06c442, v61
	v_add_f32_e32 v122, v19, v122
	v_mul_f32_e32 v19, 0x3f3d2fb0, v79
	v_mov_b32_e32 v123, v19
	v_fmac_f32_e32 v123, 0xbf2c7751, v63
	v_mul_f32_e32 v133, 0xbe3c28d5, v84
	v_add_f32_e32 v123, v123, v122
	v_mul_f32_e32 v122, 0x3ee437d1, v81
	v_add_f32_e32 v40, v42, v40
	v_fma_f32 v42, v68, s10, -v133
	v_mul_f32_e32 v134, 0x3f65296c, v85
	v_mov_b32_e32 v124, v122
	v_add_f32_e32 v40, v42, v40
	v_fma_f32 v42, v70, s6, -v134
	v_mul_f32_e32 v44, 0xbe3c28d5, v59
	v_fmac_f32_e32 v124, 0x3f65296c, v65
	v_add_f32_e32 v40, v42, v40
	v_mov_b32_e32 v42, v44
	v_mul_f32_e32 v45, 0x3eb8f4ab, v61
	v_add_f32_e32 v124, v124, v123
	v_mul_f32_e32 v123, 0xbf7ba420, v83
	v_fmac_f32_e32 v42, 0xbf7ba420, v75
	v_mov_b32_e32 v43, v45
	v_mov_b32_e32 v125, v123
	v_add_f32_e32 v16, v16, v20
	v_mul_f32_e32 v20, 0x3dbcf732, v86
	v_add_f32_e32 v42, v39, v42
	v_fmac_f32_e32 v43, 0x3f6eb680, v77
	v_mul_f32_e32 v46, 0xbf06c442, v63
	v_fmac_f32_e32 v125, 0x3e3c28d5, v67
	v_add_f32_e32 v17, v17, v21
	v_add_f32_e32 v16, v16, v22
	v_mov_b32_e32 v21, v20
	v_mul_f32_e32 v22, 0x3f6eb680, v88
	v_add_f32_e32 v42, v43, v42
	v_mov_b32_e32 v43, v46
	v_add_f32_e32 v124, v125, v124
	v_add_f32_e32 v17, v17, v23
	v_fmac_f32_e32 v21, 0xbf7ee86f, v69
	v_mov_b32_e32 v23, v22
	v_fmac_f32_e32 v43, 0xbf59a7d5, v79
	v_mul_f32_e32 v47, 0x3f2c7751, v65
	v_add_f32_e32 v21, v21, v124
	v_fmac_f32_e32 v23, 0x3eb8f4ab, v71
	v_add_f32_e32 v42, v43, v42
	v_mov_b32_e32 v43, v47
	v_add_f32_e32 v124, v23, v21
	v_mul_f32_e32 v21, 0xbf763a35, v74
	v_fmac_f32_e32 v43, 0x3f3d2fb0, v81
	v_mul_f32_e32 v103, 0xbf4c4adb, v67
	v_fma_f32 v44, v75, s10, -v44
	v_mov_b32_e32 v23, v21
	v_add_f32_e32 v42, v43, v42
	v_mov_b32_e32 v43, v103
	v_add_f32_e32 v44, v39, v44
	v_fma_f32 v45, v77, s13, -v45
	v_fmac_f32_e32 v23, 0xbe8c1d8e, v57
	v_fmac_f32_e32 v43, 0xbf1a4643, v83
	v_mul_f32_e32 v104, 0x3f65296c, v69
	v_add_f32_e32 v44, v45, v44
	v_fma_f32 v45, v79, s15, -v46
	v_add_f32_e32 v125, v38, v23
	v_mul_f32_e32 v23, 0x3f06c442, v73
	v_add_f32_e32 v42, v43, v42
	v_mov_b32_e32 v43, v104
	v_add_f32_e32 v44, v45, v44
	v_fma_f32 v45, v81, s12, -v47
	v_add_f32_e32 v16, v16, v24
	v_mov_b32_e32 v24, v23
	v_fmac_f32_e32 v43, 0x3ee437d1, v86
	v_mul_f32_e32 v105, 0xbf763a35, v71
	v_add_f32_e32 v44, v45, v44
	v_fma_f32 v45, v83, s7, -v103
	v_mul_f32_e32 v103, 0xbf59a7d5, v75
	v_fmac_f32_e32 v24, 0xbf59a7d5, v58
	v_add_f32_e32 v42, v43, v42
	v_mov_b32_e32 v43, v105
	v_add_f32_e32 v44, v45, v44
	v_fma_f32 v45, v86, s6, -v104
	v_mov_b32_e32 v46, v103
	v_mul_f32_e32 v104, 0x3ee437d1, v77
	v_add_f32_e32 v17, v17, v25
	v_add_f32_e32 v25, v24, v125
	v_mul_f32_e32 v24, 0x3f2c7751, v76
	v_fmac_f32_e32 v43, 0xbe8c1d8e, v88
	v_mul_f32_e32 v107, 0xbe3c28d5, v74
	v_fmac_f32_e32 v46, 0x3f06c442, v59
	v_mov_b32_e32 v47, v104
	v_add_f32_e32 v16, v16, v26
	v_mov_b32_e32 v26, v24
	v_add_f32_e32 v42, v43, v42
	v_fma_f32 v43, v57, s10, -v107
	v_mul_f32_e32 v108, 0x3eb8f4ab, v73
	v_mul_f32_e32 v115, 0x3f7ee86f, v72
	v_add_f32_e32 v44, v45, v44
	v_fma_f32 v45, v88, s11, -v105
	v_add_f32_e32 v46, v39, v46
	v_fmac_f32_e32 v47, 0xbf65296c, v61
	v_mul_f32_e32 v105, 0x3dbcf732, v79
	v_fmac_f32_e32 v26, 0x3f3d2fb0, v60
	v_add_f32_e32 v43, v38, v43
	v_fma_f32 v109, v58, s13, -v108
	v_add_f32_e32 v44, v45, v44
	v_fma_f32 v45, v87, s14, -v115
	v_fmac_f32_e32 v107, 0xbf7ba420, v57
	v_add_f32_e32 v46, v47, v46
	v_mov_b32_e32 v47, v105
	v_add_f32_e32 v26, v26, v25
	v_mul_f32_e32 v25, 0xbf65296c, v78
	v_add_f32_e32 v16, v16, v28
	v_add_f32_e32 v43, v109, v43
	v_mul_f32_e32 v109, 0xbf06c442, v76
	v_add_f32_e32 v45, v45, v44
	v_add_f32_e32 v44, v38, v107
	v_fmac_f32_e32 v47, 0x3f7ee86f, v63
	v_mul_f32_e32 v107, 0xbf1a4643, v81
	v_add_f32_e32 v17, v17, v27
	v_mov_b32_e32 v27, v25
	v_add_f32_e32 v28, v16, v30
	v_mul_f32_e32 v30, 0xbe3c28d5, v80
	v_fma_f32 v110, v60, s15, -v109
	v_fmac_f32_e32 v108, 0x3f6eb680, v58
	v_add_f32_e32 v46, v47, v46
	v_mov_b32_e32 v47, v107
	v_fmac_f32_e32 v27, 0x3ee437d1, v62
	v_mov_b32_e32 v16, v30
	v_add_f32_e32 v43, v110, v43
	v_mul_f32_e32 v110, 0x3f2c7751, v78
	v_add_f32_e32 v44, v108, v44
	v_fmac_f32_e32 v47, 0xbf4c4adb, v65
	v_mul_f32_e32 v108, 0x3f6eb680, v83
	v_add_f32_e32 v26, v27, v26
	v_fmac_f32_e32 v16, 0xbf7ba420, v64
	v_fma_f32 v111, v62, s12, -v110
	v_fmac_f32_e32 v109, 0xbf59a7d5, v60
	v_add_f32_e32 v46, v47, v46
	v_mov_b32_e32 v47, v108
	v_add_f32_e32 v17, v17, v29
	v_add_f32_e32 v16, v16, v26
	v_mul_f32_e32 v26, 0x3f7ee86f, v82
	v_add_f32_e32 v43, v111, v43
	v_mul_f32_e32 v111, 0xbf4c4adb, v80
	v_add_f32_e32 v44, v109, v44
	v_fmac_f32_e32 v47, 0x3eb8f4ab, v67
	v_mul_f32_e32 v109, 0xbf7ba420, v86
	v_add_f32_e32 v29, v17, v31
	v_mov_b32_e32 v17, v26
	v_fma_f32 v112, v64, s7, -v111
	v_fmac_f32_e32 v110, 0x3f3d2fb0, v62
	v_add_f32_e32 v46, v47, v46
	v_mov_b32_e32 v47, v109
	v_fmac_f32_e32 v17, 0x3dbcf732, v66
	v_mul_f32_e32 v31, 0xbeb8f4ab, v84
	v_add_f32_e32 v43, v112, v43
	v_mul_f32_e32 v112, 0x3f65296c, v82
	v_add_f32_e32 v44, v110, v44
	v_fmac_f32_e32 v47, 0x3e3c28d5, v69
	v_mul_f32_e32 v110, 0x3f3d2fb0, v88
	v_add_f32_e32 v16, v17, v16
	v_mov_b32_e32 v17, v31
	v_fma_f32 v113, v66, s6, -v112
	v_fmac_f32_e32 v111, 0xbf1a4643, v64
	v_add_f32_e32 v46, v47, v46
	v_mov_b32_e32 v47, v110
	v_mul_f32_e32 v27, 0xbf1a4643, v87
	v_fmac_f32_e32 v17, 0x3f6eb680, v68
	v_add_f32_e32 v43, v113, v43
	v_mul_f32_e32 v113, 0xbf763a35, v84
	v_add_f32_e32 v44, v111, v44
	v_fmac_f32_e32 v112, 0x3ee437d1, v66
	v_fmac_f32_e32 v47, 0xbf2c7751, v71
	v_mul_f32_e32 v111, 0xbf06c442, v74
	v_add_f32_e32 v16, v17, v16
	v_mov_b32_e32 v17, v27
	v_fma_f32 v114, v68, s11, -v113
	v_add_f32_e32 v44, v112, v44
	v_fmac_f32_e32 v113, 0xbe8c1d8e, v68
	v_add_f32_e32 v46, v47, v46
	v_mov_b32_e32 v47, v111
	v_mul_f32_e32 v112, 0x3f65296c, v73
	v_fmac_f32_e32 v17, 0x3f4c4adb, v72
	v_add_f32_e32 v114, v114, v43
	v_mov_b32_e32 v43, v115
	v_add_f32_e32 v44, v113, v44
	v_fmac_f32_e32 v47, 0xbf59a7d5, v57
	v_mov_b32_e32 v113, v112
	v_add_f32_e32 v17, v17, v124
	v_mul_f32_e32 v124, 0xbf4c4adb, v85
	v_fmac_f32_e32 v43, 0x3dbcf732, v87
	v_mul_f32_e32 v117, 0x3f7ee86f, v85
	v_add_f32_e32 v47, v38, v47
	v_fmac_f32_e32 v113, 0x3ee437d1, v58
	v_mov_b32_e32 v125, v124
	v_add_f32_e32 v43, v43, v42
	v_fma_f32 v42, v70, s14, -v117
	v_add_f32_e32 v47, v113, v47
	v_mul_f32_e32 v113, 0xbf7ee86f, v76
	v_fmac_f32_e32 v125, 0xbf1a4643, v70
	v_add_f32_e32 v42, v42, v114
	v_mov_b32_e32 v114, v113
	v_add_f32_e32 v16, v125, v16
	v_add_f32_e32 v12, v28, v12
	v_mul_f32_e32 v125, 0x3dbcf732, v75
	v_fmac_f32_e32 v114, 0x3dbcf732, v60
	v_add_f32_e32 v13, v29, v13
	v_add_f32_e32 v28, v12, v14
	v_mov_b32_e32 v12, v125
	v_mul_f32_e32 v126, 0xbf7ba420, v77
	v_add_f32_e32 v47, v114, v47
	v_mul_f32_e32 v114, 0x3f4c4adb, v78
	v_add_f32_e32 v29, v13, v15
	v_fmac_f32_e32 v12, 0x3f7ee86f, v59
	v_mov_b32_e32 v13, v126
	v_mov_b32_e32 v115, v114
	v_add_f32_e32 v12, v39, v12
	v_fmac_f32_e32 v13, 0x3e3c28d5, v61
	v_mul_f32_e32 v127, 0xbe8c1d8e, v79
	v_fmac_f32_e32 v115, 0xbf1a4643, v62
	v_add_f32_e32 v12, v13, v12
	v_mov_b32_e32 v13, v127
	v_fmac_f32_e32 v117, 0x3dbcf732, v70
	v_add_f32_e32 v47, v115, v47
	v_mul_f32_e32 v115, 0xbeb8f4ab, v80
	v_fmac_f32_e32 v13, 0xbf763a35, v63
	v_mul_f32_e32 v128, 0x3f6eb680, v81
	v_add_f32_e32 v44, v117, v44
	v_mov_b32_e32 v117, v115
	v_add_f32_e32 v12, v13, v12
	v_mov_b32_e32 v13, v128
	v_fmac_f32_e32 v117, 0x3f6eb680, v64
	v_fmac_f32_e32 v13, 0xbeb8f4ab, v65
	v_mul_f32_e32 v129, 0x3ee437d1, v83
	v_add_f32_e32 v47, v117, v47
	v_mul_f32_e32 v117, 0xbe3c28d5, v82
	v_add_f32_e32 v12, v13, v12
	v_mov_b32_e32 v13, v129
	v_mov_b32_e32 v118, v117
	v_fmac_f32_e32 v13, 0x3f65296c, v67
	v_mul_f32_e32 v130, 0xbf59a7d5, v86
	v_fmac_f32_e32 v118, 0xbf7ba420, v66
	v_add_f32_e32 v12, v13, v12
	v_mov_b32_e32 v13, v130
	v_add_f32_e32 v47, v118, v47
	v_mul_f32_e32 v118, 0x3f2c7751, v84
	v_fmac_f32_e32 v13, 0x3f06c442, v69
	v_mul_f32_e32 v131, 0xbf1a4643, v88
	v_mov_b32_e32 v119, v118
	v_add_f32_e32 v12, v13, v12
	v_mov_b32_e32 v13, v131
	v_fmac_f32_e32 v119, 0x3f3d2fb0, v68
	v_mul_f32_e32 v120, 0xbe8c1d8e, v87
	v_fmac_f32_e32 v133, 0xbf7ba420, v68
	v_fmac_f32_e32 v13, 0xbf4c4adb, v71
	v_mul_f32_e32 v132, 0xbf7ee86f, v74
	v_add_f32_e32 v135, v119, v47
	v_mov_b32_e32 v47, v120
	v_add_f32_e32 v48, v133, v48
	v_add_f32_e32 v12, v13, v12
	v_mov_b32_e32 v13, v132
	v_mul_f32_e32 v133, 0xbe3c28d5, v73
	v_fmac_f32_e32 v47, 0x3f763a35, v72
	v_mul_f32_e32 v119, 0xbf763a35, v85
	v_fmac_f32_e32 v134, 0x3ee437d1, v70
	v_fmac_f32_e32 v13, 0x3dbcf732, v57
	v_mov_b32_e32 v14, v133
	v_add_f32_e32 v47, v47, v46
	v_mov_b32_e32 v46, v119
	v_add_f32_e32 v48, v134, v48
	v_add_f32_e32 v13, v38, v13
	v_fmac_f32_e32 v14, 0xbf7ba420, v58
	v_mul_f32_e32 v134, 0x3f763a35, v76
	v_fmac_f32_e32 v46, 0xbe8c1d8e, v70
	v_add_f32_e32 v13, v14, v13
	v_mov_b32_e32 v14, v134
	v_add_f32_e32 v46, v46, v135
	v_fmac_f32_e32 v14, 0xbe8c1d8e, v60
	v_mul_f32_e32 v135, 0x3eb8f4ab, v78
	v_add_f32_e32 v13, v14, v13
	v_mov_b32_e32 v14, v135
	v_fmac_f32_e32 v14, 0x3f6eb680, v62
	v_mul_f32_e32 v136, 0xbf65296c, v80
	v_add_f32_e32 v13, v14, v13
	v_mov_b32_e32 v14, v136
	;; [unrolled: 4-line block ×6, first 2 shown]
	v_fmac_f32_e32 v12, 0x3f3d2fb0, v70
	v_add_f32_e32 v12, v12, v14
	v_mul_f32_e32 v14, 0xbf65296c, v59
	v_sub_f32_e32 v14, v92, v14
	v_mul_f32_e32 v92, 0x3ee437d1, v57
	v_mul_f32_e32 v15, 0xbf4c4adb, v61
	v_add_f32_e32 v90, v92, v90
	v_mul_f32_e32 v92, 0xbf1a4643, v58
	v_sub_f32_e32 v15, v93, v15
	v_add_f32_e32 v14, v39, v14
	v_add_f32_e32 v89, v92, v89
	;; [unrolled: 1-line block ×4, first 2 shown]
	v_mul_f32_e32 v15, 0x3e3c28d5, v63
	v_add_f32_e32 v89, v89, v90
	v_mul_f32_e32 v90, 0xbf7ba420, v60
	v_sub_f32_e32 v15, v95, v15
	v_add_f32_e32 v90, v90, v91
	v_add_f32_e32 v9, v29, v9
	;; [unrolled: 1-line block ×3, first 2 shown]
	v_mul_f32_e32 v15, 0x3f763a35, v65
	v_add_f32_e32 v89, v90, v89
	v_mul_f32_e32 v90, 0xbe8c1d8e, v62
	v_add_f32_e32 v9, v9, v11
	v_sub_f32_e32 v15, v97, v15
	v_add_f32_e32 v90, v90, v94
	v_add_f32_e32 v8, v28, v8
	;; [unrolled: 1-line block ×4, first 2 shown]
	v_mul_f32_e32 v15, 0x3f2c7751, v67
	v_add_f32_e32 v89, v90, v89
	v_mul_f32_e32 v90, 0x3f3d2fb0, v64
	v_add_f32_e32 v8, v8, v10
	v_add_f32_e32 v5, v5, v7
	v_sub_f32_e32 v15, v99, v15
	v_add_f32_e32 v90, v90, v96
	v_add_f32_e32 v4, v8, v4
	;; [unrolled: 1-line block ×3, first 2 shown]
	v_mul_f32_e32 v94, 0xbf2c7751, v74
	v_add_f32_e32 v14, v15, v14
	v_mul_f32_e32 v15, 0xbeb8f4ab, v69
	v_add_f32_e32 v89, v90, v89
	;; [unrolled: 2-line block ×3, first 2 shown]
	v_add_f32_e32 v1, v1, v3
	v_mov_b32_e32 v3, v94
	v_mul_f32_e32 v95, 0xbf7ee86f, v73
	v_sub_f32_e32 v15, v101, v15
	v_add_f32_e32 v90, v90, v98
	v_add_f32_e32 v0, v4, v0
	v_fmac_f32_e32 v3, 0x3f3d2fb0, v57
	v_mov_b32_e32 v4, v95
	v_add_f32_e32 v14, v15, v14
	v_mul_f32_e32 v15, 0xbf7ee86f, v71
	v_add_f32_e32 v89, v90, v89
	v_mul_f32_e32 v90, 0x3dbcf732, v68
	v_add_f32_e32 v3, v38, v3
	v_fmac_f32_e32 v4, 0x3dbcf732, v58
	v_mul_f32_e32 v96, 0xbf4c4adb, v76
	v_sub_f32_e32 v15, v106, v15
	v_add_f32_e32 v90, v90, v100
	v_mul_f32_e32 v28, 0x3f3d2fb0, v75
	v_add_f32_e32 v3, v4, v3
	v_mov_b32_e32 v4, v96
	v_add_f32_e32 v14, v15, v14
	v_mul_f32_e32 v15, 0xbf06c442, v72
	v_add_f32_e32 v89, v90, v89
	v_mul_f32_e32 v90, 0xbf59a7d5, v70
	v_mov_b32_e32 v10, v28
	v_mul_f32_e32 v29, 0x3dbcf732, v77
	v_fmac_f32_e32 v4, 0xbf1a4643, v60
	v_mul_f32_e32 v97, 0xbe3c28d5, v78
	v_sub_f32_e32 v15, v116, v15
	v_add_f32_e32 v90, v90, v102
	v_fmac_f32_e32 v10, 0x3f2c7751, v59
	v_mov_b32_e32 v11, v29
	v_add_f32_e32 v3, v4, v3
	v_mov_b32_e32 v4, v97
	v_add_f32_e32 v15, v15, v14
	v_add_f32_e32 v14, v90, v89
	;; [unrolled: 1-line block ×3, first 2 shown]
	v_fmac_f32_e32 v11, 0x3f7ee86f, v61
	v_mul_f32_e32 v89, 0xbf1a4643, v79
	v_fmac_f32_e32 v4, 0xbf7ba420, v62
	v_mul_f32_e32 v98, 0x3f06c442, v80
	v_add_f32_e32 v10, v11, v10
	v_mov_b32_e32 v11, v89
	v_mul_f32_e32 v90, 0xbf7ba420, v81
	v_add_f32_e32 v3, v4, v3
	v_mov_b32_e32 v4, v98
	v_fmac_f32_e32 v11, 0x3f4c4adb, v63
	v_mov_b32_e32 v6, v90
	v_mul_f32_e32 v91, 0xbf59a7d5, v83
	v_fmac_f32_e32 v4, 0xbf59a7d5, v64
	v_mul_f32_e32 v99, 0x3f763a35, v82
	v_add_f32_e32 v10, v11, v10
	v_fmac_f32_e32 v6, 0x3e3c28d5, v65
	v_mov_b32_e32 v7, v91
	v_add_f32_e32 v3, v4, v3
	v_mov_b32_e32 v4, v99
	v_add_f32_e32 v6, v6, v10
	v_fmac_f32_e32 v7, 0xbf06c442, v67
	v_mul_f32_e32 v92, 0xbe8c1d8e, v86
	v_fmac_f32_e32 v4, 0xbe8c1d8e, v66
	v_mul_f32_e32 v100, 0x3f65296c, v84
	v_add_f32_e32 v6, v7, v6
	v_mov_b32_e32 v7, v92
	v_mul_f32_e32 v93, 0x3ee437d1, v88
	v_add_f32_e32 v3, v4, v3
	v_mov_b32_e32 v4, v100
	v_fmac_f32_e32 v7, 0xbf763a35, v69
	v_add_f32_e32 v0, v0, v2
	v_mov_b32_e32 v2, v93
	v_fmac_f32_e32 v4, 0x3ee437d1, v68
	v_mul_f32_e32 v101, 0x3f6eb680, v87
	v_add_f32_e32 v6, v7, v6
	v_fmac_f32_e32 v2, 0xbf65296c, v71
	v_add_f32_e32 v4, v4, v3
	v_mov_b32_e32 v3, v101
	v_add_f32_e32 v2, v2, v6
	v_fmac_f32_e32 v3, 0xbeb8f4ab, v72
	v_mul_f32_e32 v102, 0x3eb8f4ab, v85
	v_add_f32_e32 v3, v3, v2
	v_mov_b32_e32 v2, v102
	v_fmac_f32_e32 v2, 0x3f6eb680, v70
	v_mul_f32_e32 v75, 0x3f6eb680, v75
	v_add_f32_e32 v2, v2, v4
	v_mov_b32_e32 v4, v75
	v_mul_f32_e32 v77, 0x3f3d2fb0, v77
	v_fmac_f32_e32 v4, 0x3eb8f4ab, v59
	v_mov_b32_e32 v5, v77
	v_add_f32_e32 v4, v39, v4
	v_fmac_f32_e32 v5, 0x3f2c7751, v61
	v_mul_f32_e32 v79, 0x3ee437d1, v79
	v_add_f32_e32 v4, v5, v4
	v_mov_b32_e32 v5, v79
	v_fmac_f32_e32 v5, 0x3f65296c, v63
	v_mul_f32_e32 v81, 0x3dbcf732, v81
	v_add_f32_e32 v4, v5, v4
	v_mov_b32_e32 v5, v81
	;; [unrolled: 4-line block ×6, first 2 shown]
	v_mul_f32_e32 v73, 0xbf2c7751, v73
	v_fmac_f32_e32 v5, 0x3f6eb680, v57
	v_mov_b32_e32 v6, v73
	v_add_f32_e32 v5, v38, v5
	v_fmac_f32_e32 v6, 0x3f3d2fb0, v58
	v_mul_f32_e32 v76, 0xbf65296c, v76
	v_add_f32_e32 v5, v6, v5
	v_mov_b32_e32 v6, v76
	v_fmac_f32_e32 v6, 0x3ee437d1, v60
	v_mul_f32_e32 v78, 0xbf7ee86f, v78
	v_add_f32_e32 v5, v6, v5
	v_mov_b32_e32 v6, v78
	;; [unrolled: 4-line block ×7, first 2 shown]
	v_fmac_f32_e32 v4, 0xbf7ba420, v70
	v_fmac_f32_e32 v103, 0xbf06c442, v59
	v_add_f32_e32 v4, v4, v6
	v_add_f32_e32 v6, v39, v103
	v_fmac_f32_e32 v104, 0x3f65296c, v61
	v_add_f32_e32 v6, v104, v6
	v_fmac_f32_e32 v105, 0xbf7ee86f, v63
	;; [unrolled: 2-line block ×5, first 2 shown]
	v_fma_f32 v7, v57, s15, -v111
	v_add_f32_e32 v6, v109, v6
	v_fmac_f32_e32 v110, 0x3f2c7751, v71
	v_add_f32_e32 v7, v38, v7
	v_fma_f32 v8, v58, s6, -v112
	v_add_f32_e32 v6, v110, v6
	v_add_f32_e32 v7, v8, v7
	v_fma_f32 v8, v60, s14, -v113
	v_fmac_f32_e32 v120, 0xbf763a35, v72
	v_add_f32_e32 v8, v8, v7
	v_add_f32_e32 v7, v120, v6
	v_fma_f32 v6, v62, s7, -v114
	v_add_f32_e32 v6, v6, v8
	v_fma_f32 v8, v64, s13, -v115
	v_add_f32_e32 v6, v8, v6
	v_fma_f32 v8, v66, s10, -v117
	v_add_f32_e32 v6, v8, v6
	v_fma_f32 v8, v68, s12, -v118
	v_add_f32_e32 v6, v8, v6
	v_fma_f32 v8, v70, s11, -v119
	v_fmac_f32_e32 v121, 0xbf763a35, v59
	v_add_f32_e32 v6, v8, v6
	v_add_f32_e32 v8, v39, v121
	v_fmac_f32_e32 v18, 0x3f06c442, v61
	v_add_f32_e32 v8, v18, v8
	v_fmac_f32_e32 v19, 0x3f2c7751, v63
	v_add_f32_e32 v8, v19, v8
	v_fmac_f32_e32 v122, 0xbf65296c, v65
	v_add_f32_e32 v8, v122, v8
	v_fmac_f32_e32 v123, 0xbe3c28d5, v67
	v_add_f32_e32 v8, v123, v8
	v_fmac_f32_e32 v20, 0x3f7ee86f, v69
	v_add_f32_e32 v8, v20, v8
	v_fmac_f32_e32 v22, 0xbeb8f4ab, v71
	v_add_f32_e32 v8, v22, v8
	v_fmac_f32_e32 v27, 0xbf4c4adb, v72
	v_add_f32_e32 v9, v27, v8
	v_fma_f32 v8, v57, s11, -v21
	v_add_f32_e32 v8, v38, v8
	v_fma_f32 v10, v58, s15, -v23
	v_add_f32_e32 v8, v10, v8
	v_fma_f32 v10, v60, s12, -v24
	v_add_f32_e32 v8, v10, v8
	v_fma_f32 v10, v62, s6, -v25
	v_add_f32_e32 v8, v10, v8
	v_fma_f32 v10, v64, s10, -v30
	v_add_f32_e32 v8, v10, v8
	v_fma_f32 v10, v66, s14, -v26
	v_add_f32_e32 v8, v10, v8
	v_fma_f32 v10, v68, s13, -v31
	v_add_f32_e32 v8, v10, v8
	v_fma_f32 v10, v70, s7, -v124
	v_fmac_f32_e32 v125, 0xbf7ee86f, v59
	v_add_f32_e32 v8, v10, v8
	v_add_f32_e32 v10, v39, v125
	v_fmac_f32_e32 v126, 0xbe3c28d5, v61
	v_add_f32_e32 v10, v126, v10
	v_fmac_f32_e32 v127, 0x3f763a35, v63
	v_add_f32_e32 v10, v127, v10
	v_fmac_f32_e32 v128, 0x3eb8f4ab, v65
	v_add_f32_e32 v10, v128, v10
	v_fmac_f32_e32 v129, 0xbf65296c, v67
	v_add_f32_e32 v10, v129, v10
	v_fmac_f32_e32 v130, 0xbf06c442, v69
	v_add_f32_e32 v10, v130, v10
	v_fmac_f32_e32 v131, 0x3f4c4adb, v71
	v_add_f32_e32 v10, v131, v10
	v_fmac_f32_e32 v139, 0x3f2c7751, v72
	v_add_f32_e32 v11, v139, v10
	v_fma_f32 v10, v57, s14, -v132
	v_add_f32_e32 v10, v38, v10
	v_fma_f32 v18, v58, s10, -v133
	v_add_f32_e32 v10, v18, v10
	v_fma_f32 v18, v60, s11, -v134
	;; [unrolled: 32-line block ×4, first 2 shown]
	v_add_f32_e32 v20, v22, v20
	v_fma_f32 v22, v62, s14, -v78
	v_add_f32_e32 v20, v22, v20
	v_fma_f32 v22, v64, s11, -v80
	;; [unrolled: 2-line block ×5, first 2 shown]
	v_add_f32_e32 v20, v22, v20
	v_mul_u32_u24_e32 v22, 0x88, v32
	v_add3_u32 v22, 0, v22, v52
	ds_write2_b64 v22, v[0:1], v[4:5] offset1:1
	ds_write2_b64 v22, v[2:3], v[14:15] offset0:2 offset1:3
	ds_write2_b64 v22, v[12:13], v[16:17] offset0:4 offset1:5
	;; [unrolled: 1-line block ×7, first 2 shown]
	ds_write_b64 v22, v[20:21] offset:128
.LBB0_18:
	s_or_b64 exec, exec, s[4:5]
	s_movk_i32 s4, 0xf1
	v_mul_lo_u16_sdwa v30, v32, s4 dst_sel:DWORD dst_unused:UNUSED_PAD src0_sel:BYTE_0 src1_sel:DWORD
	v_lshrrev_b16_e32 v60, 12, v30
	v_add_u16_e32 v31, 0x55, v32
	v_mul_lo_u16_e32 v4, 17, v60
	v_mul_lo_u16_sdwa v38, v31, s4 dst_sel:DWORD dst_unused:UNUSED_PAD src0_sel:BYTE_0 src1_sel:DWORD
	v_sub_u16_e32 v4, v32, v4
	v_mov_b32_e32 v29, 3
	v_lshrrev_b16_e32 v62, 12, v38
	v_lshlrev_b32_sdwa v61, v29, v4 dst_sel:DWORD dst_unused:UNUSED_PAD src0_sel:DWORD src1_sel:BYTE_0
	v_mul_lo_u16_e32 v4, 17, v62
	v_sub_u16_e32 v4, v31, v4
	v_add_u16_e32 v28, 0xaa, v32
	v_lshlrev_b32_sdwa v63, v29, v4 dst_sel:DWORD dst_unused:UNUSED_PAD src0_sel:DWORD src1_sel:BYTE_0
	v_mul_lo_u16_sdwa v4, v28, s4 dst_sel:DWORD dst_unused:UNUSED_PAD src0_sel:BYTE_0 src1_sel:DWORD
	v_lshrrev_b16_e32 v64, 12, v4
	v_mul_lo_u16_e32 v4, 17, v64
	v_add_u32_e32 v0, 0xff, v32
	v_sub_u16_e32 v4, v28, v4
	s_mov_b32 s4, 0xf0f1
	v_lshlrev_b32_sdwa v65, v29, v4 dst_sel:DWORD dst_unused:UNUSED_PAD src0_sel:DWORD src1_sel:BYTE_0
	v_mul_u32_u24_sdwa v4, v0, s4 dst_sel:DWORD dst_unused:UNUSED_PAD src0_sel:WORD_0 src1_sel:DWORD
	v_lshrrev_b32_e32 v66, 20, v4
	v_mul_lo_u16_e32 v4, 17, v66
	v_add_u32_e32 v1, 0x154, v32
	v_sub_u16_e32 v0, v0, v4
	v_lshlrev_b32_e32 v67, 3, v0
	v_mul_u32_u24_sdwa v0, v1, s4 dst_sel:DWORD dst_unused:UNUSED_PAD src0_sel:WORD_0 src1_sel:DWORD
	v_lshrrev_b32_e32 v68, 20, v0
	v_mul_lo_u16_e32 v0, 17, v68
	v_add_u32_e32 v2, 0x1a9, v32
	v_sub_u16_e32 v0, v1, v0
	v_lshlrev_b32_e32 v69, 3, v0
	;; [unrolled: 6-line block ×3, first 2 shown]
	v_mul_u32_u24_sdwa v0, v3, s4 dst_sel:DWORD dst_unused:UNUSED_PAD src0_sel:WORD_0 src1_sel:DWORD
	v_lshrrev_b32_e32 v72, 20, v0
	v_mul_lo_u16_e32 v0, 17, v72
	s_waitcnt lgkmcnt(0)
	s_barrier
	global_load_dwordx2 v[24:25], v61, s[8:9]
	global_load_dwordx2 v[26:27], v63, s[8:9]
	;; [unrolled: 1-line block ×6, first 2 shown]
	v_sub_u16_e32 v0, v3, v0
	v_lshlrev_b32_e32 v73, 3, v0
	global_load_dwordx2 v[48:49], v73, s[8:9]
	ds_read2_b64 v[0:3], v55 offset0:83 offset1:168
	ds_read2_b64 v[4:7], v33 offset0:85 offset1:170
	v_add_u32_e32 v39, 0x1400, v33
	ds_read2_b64 v[8:11], v56 offset0:127 offset1:212
	ds_read2_b64 v[12:15], v53 offset0:167 offset1:252
	;; [unrolled: 1-line block ×3, first 2 shown]
	ds_read_b64 v[56:57], v51
	ds_read_b64 v[58:59], v33 offset:8840
	ds_read2_b64 v[20:23], v39 offset0:125 offset1:210
	s_movk_i32 s4, 0x110
	s_waitcnt vmcnt(0) lgkmcnt(0)
	s_barrier
	v_mul_f32_e32 v74, v25, v1
	v_mul_f32_e32 v75, v27, v3
	v_mul_f32_e32 v76, v41, v21
	v_mul_f32_e32 v41, v41, v20
	v_mul_f32_e32 v25, v25, v0
	v_mul_f32_e32 v79, v15, v47
	v_mul_f32_e32 v27, v27, v2
	v_mul_f32_e32 v78, v13, v45
	v_fmac_f32_e32 v75, v26, v2
	v_fma_f32 v2, v40, v21, -v41
	v_fmac_f32_e32 v79, v14, v46
	v_mul_f32_e32 v77, v43, v23
	v_mul_f32_e32 v43, v43, v22
	v_mul_f32_e32 v45, v12, v45
	v_fmac_f32_e32 v74, v24, v0
	v_fma_f32 v0, v24, v1, -v25
	v_fmac_f32_e32 v78, v12, v44
	v_mul_f32_e32 v12, v58, v49
	v_sub_f32_e32 v25, v7, v2
	v_sub_f32_e32 v2, v16, v79
	v_mul_f32_e32 v47, v14, v47
	v_fma_f32 v1, v26, v3, -v27
	v_fma_f32 v3, v42, v23, -v43
	;; [unrolled: 1-line block ×4, first 2 shown]
	v_sub_f32_e32 v12, v56, v74
	v_sub_f32_e32 v13, v57, v0
	v_fma_f32 v0, v16, 2.0, -v2
	v_mad_u32_u24 v16, v60, s4, 0
	v_fma_f32 v44, v15, v46, -v47
	v_fma_f32 v14, v56, 2.0, -v12
	v_fma_f32 v15, v57, 2.0, -v13
	v_add3_u32 v16, v16, v61, v52
	v_fmac_f32_e32 v76, v40, v20
	v_sub_f32_e32 v20, v4, v75
	v_sub_f32_e32 v21, v5, v1
	ds_write2_b64 v16, v[14:15], v[12:13] offset1:17
	v_mad_u32_u24 v12, v62, s4, 0
	v_fmac_f32_e32 v77, v42, v22
	v_fma_f32 v22, v4, 2.0, -v20
	v_fma_f32 v23, v5, 2.0, -v21
	v_add3_u32 v12, v12, v63, v52
	v_sub_f32_e32 v24, v6, v76
	ds_write2_b64 v12, v[22:23], v[20:21] offset1:17
	v_mad_u32_u24 v12, v64, s4, 0
	v_fma_f32 v26, v6, 2.0, -v24
	v_fma_f32 v27, v7, 2.0, -v25
	v_add3_u32 v12, v12, v65, v52
	v_sub_f32_e32 v40, v8, v77
	v_sub_f32_e32 v41, v9, v3
	ds_write2_b64 v12, v[26:27], v[24:25] offset1:17
	v_mad_u32_u24 v12, v66, s4, 0
	v_fma_f32 v8, v8, 2.0, -v40
	v_fma_f32 v9, v9, 2.0, -v41
	v_add3_u32 v12, v12, v67, v52
	v_sub_f32_e32 v42, v10, v78
	v_sub_f32_e32 v43, v11, v43
	ds_write2_b64 v12, v[8:9], v[40:41] offset1:17
	v_mad_u32_u24 v8, v68, s4, 0
	v_fma_f32 v10, v10, 2.0, -v42
	v_fma_f32 v11, v11, 2.0, -v43
	v_add3_u32 v8, v8, v69, v52
	v_mul_f32_e32 v80, v59, v49
	v_sub_f32_e32 v3, v17, v44
	ds_write2_b64 v8, v[10:11], v[42:43] offset1:17
	v_mad_u32_u24 v8, v70, s4, 0
	v_fmac_f32_e32 v80, v58, v48
	v_fma_f32 v1, v17, 2.0, -v3
	v_add3_u32 v8, v8, v71, v52
	v_sub_f32_e32 v6, v18, v80
	v_sub_f32_e32 v7, v19, v45
	ds_write2_b64 v8, v[0:1], v[2:3] offset1:17
	v_mad_u32_u24 v8, v72, s4, 0
	v_fma_f32 v4, v18, 2.0, -v6
	v_fma_f32 v5, v19, 2.0, -v7
	v_add3_u32 v8, v8, v73, v52
	ds_write2_b64 v8, v[4:5], v[6:7] offset1:17
	s_waitcnt lgkmcnt(0)
	s_barrier
	ds_read2_b64 v[8:11], v33 offset0:85 offset1:238
	ds_read2_b64 v[12:15], v54 offset0:67 offset1:220
	;; [unrolled: 1-line block ×4, first 2 shown]
	ds_read_b64 v[24:25], v51
	ds_read_b64 v[26:27], v33 offset:8296
	s_movk_i32 s4, 0x44
	v_cmp_gt_u32_e32 vcc, s4, v32
	s_and_saveexec_b64 s[4:5], vcc
	s_cbranch_execz .LBB0_20
; %bb.19:
	v_add_u32_e32 v0, 0x500, v33
	ds_read2_b64 v[0:3], v0 offset0:10 offset1:248
	ds_read2_b64 v[4:7], v39 offset0:6 offset1:244
	ds_read_b64 v[36:37], v33 offset:8976
.LBB0_20:
	s_or_b64 exec, exec, s[4:5]
	v_lshrrev_b16_e32 v47, 13, v30
	v_mul_lo_u16_e32 v30, 34, v47
	v_sub_u16_e32 v48, v32, v30
	v_mov_b32_e32 v30, 5
	v_lshlrev_b32_sdwa v49, v30, v48 dst_sel:DWORD dst_unused:UNUSED_PAD src0_sel:DWORD src1_sel:BYTE_0
	v_lshrrev_b16_e32 v38, 13, v38
	global_load_dwordx4 v[39:42], v49, s[8:9] offset:136
	global_load_dwordx4 v[43:46], v49, s[8:9] offset:152
	v_mul_lo_u16_e32 v49, 34, v38
	v_sub_u16_e32 v31, v31, v49
	v_lshlrev_b32_sdwa v49, v30, v31 dst_sel:DWORD dst_unused:UNUSED_PAD src0_sel:DWORD src1_sel:BYTE_0
	global_load_dwordx4 v[53:56], v49, s[8:9] offset:136
	global_load_dwordx4 v[57:60], v49, s[8:9] offset:152
	s_movk_i32 s6, 0x550
	s_waitcnt vmcnt(0) lgkmcnt(0)
	s_barrier
	v_mul_f32_e32 v49, v40, v11
	v_mul_f32_e32 v61, v42, v15
	;; [unrolled: 1-line block ×5, first 2 shown]
	v_fmac_f32_e32 v49, v39, v10
	v_fmac_f32_e32 v61, v41, v14
	;; [unrolled: 1-line block ×4, first 2 shown]
	v_mul_f32_e32 v42, v42, v14
	v_mul_f32_e32 v44, v44, v18
	;; [unrolled: 1-line block ×3, first 2 shown]
	v_fma_f32 v39, v39, v11, -v40
	v_add_f32_e32 v10, v24, v49
	v_add_f32_e32 v11, v61, v62
	;; [unrolled: 1-line block ×3, first 2 shown]
	v_mul_f32_e32 v64, v54, v13
	v_mul_f32_e32 v54, v54, v12
	;; [unrolled: 1-line block ×4, first 2 shown]
	v_fma_f32 v40, v41, v15, -v42
	v_fma_f32 v18, v43, v19, -v44
	;; [unrolled: 1-line block ×3, first 2 shown]
	v_add_f32_e32 v46, v10, v61
	v_fma_f32 v10, -0.5, v11, v24
	v_fma_f32 v24, -0.5, v14, v24
	v_mul_f32_e32 v65, v56, v17
	v_mul_f32_e32 v56, v56, v16
	v_fmac_f32_e32 v64, v53, v12
	v_fma_f32 v41, v53, v13, -v54
	v_fmac_f32_e32 v66, v57, v20
	v_fma_f32 v43, v57, v21, -v58
	v_sub_f32_e32 v20, v40, v18
	v_sub_f32_e32 v12, v49, v61
	;; [unrolled: 1-line block ×3, first 2 shown]
	v_add_f32_e32 v21, v25, v39
	v_mov_b32_e32 v14, v24
	v_fmac_f32_e32 v65, v55, v16
	v_fma_f32 v42, v55, v17, -v56
	v_sub_f32_e32 v15, v39, v19
	v_sub_f32_e32 v16, v61, v49
	;; [unrolled: 1-line block ×3, first 2 shown]
	v_add_f32_e32 v22, v40, v18
	v_sub_f32_e32 v23, v49, v63
	v_add_f32_e32 v49, v12, v13
	v_add_f32_e32 v13, v21, v40
	v_mov_b32_e32 v12, v10
	v_fmac_f32_e32 v24, 0xbf737871, v20
	v_fmac_f32_e32 v14, 0x3f737871, v20
	v_add_f32_e32 v53, v16, v17
	v_fma_f32 v11, -0.5, v22, v25
	v_fmac_f32_e32 v10, 0x3f737871, v15
	v_add_f32_e32 v17, v13, v18
	v_fmac_f32_e32 v12, 0xbf737871, v15
	v_fmac_f32_e32 v24, 0x3f167918, v15
	;; [unrolled: 1-line block ×3, first 2 shown]
	v_add_f32_e32 v15, v39, v19
	v_mul_f32_e32 v67, v60, v27
	v_mul_f32_e32 v60, v60, v26
	v_sub_f32_e32 v45, v19, v18
	v_mov_b32_e32 v13, v11
	v_fmac_f32_e32 v10, 0x3f167918, v20
	v_add_f32_e32 v17, v17, v19
	v_fmac_f32_e32 v12, 0xbf167918, v20
	v_fmac_f32_e32 v25, -0.5, v15
	v_sub_f32_e32 v20, v40, v39
	v_sub_f32_e32 v18, v18, v19
	v_add_f32_e32 v19, v65, v66
	v_fmac_f32_e32 v67, v59, v26
	v_fma_f32 v44, v59, v27, -v60
	v_sub_f32_e32 v26, v61, v62
	v_sub_f32_e32 v27, v39, v40
	v_fmac_f32_e32 v11, 0xbf737871, v23
	v_fmac_f32_e32 v13, 0x3f737871, v23
	v_mov_b32_e32 v15, v25
	v_add_f32_e32 v18, v20, v18
	v_fma_f32 v20, -0.5, v19, v8
	v_add_f32_e32 v21, v27, v45
	v_fmac_f32_e32 v11, 0xbf167918, v26
	v_fmac_f32_e32 v13, 0x3f167918, v26
	;; [unrolled: 1-line block ×4, first 2 shown]
	v_sub_f32_e32 v19, v41, v44
	v_mov_b32_e32 v22, v20
	v_fmac_f32_e32 v13, 0x3e9e377a, v21
	v_fmac_f32_e32 v11, 0x3e9e377a, v21
	;; [unrolled: 1-line block ×5, first 2 shown]
	v_sub_f32_e32 v21, v42, v43
	v_sub_f32_e32 v23, v64, v65
	v_sub_f32_e32 v26, v67, v66
	v_fmac_f32_e32 v20, 0x3f737871, v19
	v_fmac_f32_e32 v22, 0xbf167918, v21
	v_add_f32_e32 v23, v23, v26
	v_fmac_f32_e32 v20, 0x3f167918, v21
	v_fmac_f32_e32 v22, 0x3e9e377a, v23
	v_fmac_f32_e32 v20, 0x3e9e377a, v23
	v_add_f32_e32 v23, v64, v67
	v_fmac_f32_e32 v15, 0x3e9e377a, v18
	v_fmac_f32_e32 v25, 0x3e9e377a, v18
	v_add_f32_e32 v18, v8, v64
	v_fma_f32 v8, -0.5, v23, v8
	v_mov_b32_e32 v26, v8
	v_fmac_f32_e32 v26, 0x3f737871, v21
	v_sub_f32_e32 v23, v65, v64
	v_sub_f32_e32 v27, v66, v67
	v_fmac_f32_e32 v8, 0xbf737871, v21
	v_add_f32_e32 v21, v42, v43
	v_fmac_f32_e32 v26, 0xbf167918, v19
	v_add_f32_e32 v23, v23, v27
	v_fmac_f32_e32 v8, 0x3f167918, v19
	v_fma_f32 v21, -0.5, v21, v9
	v_fmac_f32_e32 v26, 0x3e9e377a, v23
	v_fmac_f32_e32 v8, 0x3e9e377a, v23
	v_sub_f32_e32 v39, v64, v67
	v_mov_b32_e32 v23, v21
	v_fmac_f32_e32 v23, 0x3f737871, v39
	v_sub_f32_e32 v40, v65, v66
	v_sub_f32_e32 v27, v41, v42
	;; [unrolled: 1-line block ×3, first 2 shown]
	v_fmac_f32_e32 v21, 0xbf737871, v39
	v_fmac_f32_e32 v23, 0x3f167918, v40
	v_add_f32_e32 v27, v27, v45
	v_fmac_f32_e32 v21, 0xbf167918, v40
	v_fmac_f32_e32 v23, 0x3e9e377a, v27
	;; [unrolled: 1-line block ×3, first 2 shown]
	v_add_f32_e32 v27, v41, v44
	v_add_f32_e32 v19, v9, v41
	v_fmac_f32_e32 v9, -0.5, v27
	v_mov_b32_e32 v27, v9
	v_fmac_f32_e32 v27, 0xbf737871, v40
	v_fmac_f32_e32 v9, 0x3f737871, v40
	v_add_f32_e32 v16, v46, v62
	v_fmac_f32_e32 v27, 0x3f167918, v39
	v_fmac_f32_e32 v9, 0xbf167918, v39
	v_mad_u32_u24 v39, v47, s6, 0
	v_lshlrev_b32_sdwa v40, v29, v48 dst_sel:DWORD dst_unused:UNUSED_PAD src0_sel:DWORD src1_sel:BYTE_0
	v_add_f32_e32 v16, v16, v63
	v_fmac_f32_e32 v10, 0x3e9e377a, v49
	v_fmac_f32_e32 v12, 0x3e9e377a, v49
	v_add_f32_e32 v18, v18, v65
	v_add_f32_e32 v19, v19, v42
	v_add3_u32 v39, v39, v40, v52
	v_fmac_f32_e32 v24, 0x3e9e377a, v53
	v_fmac_f32_e32 v14, 0x3e9e377a, v53
	v_add_f32_e32 v18, v18, v66
	v_add_f32_e32 v19, v19, v43
	v_sub_f32_e32 v41, v42, v41
	v_sub_f32_e32 v42, v43, v44
	ds_write2_b64 v39, v[16:17], v[12:13] offset1:34
	ds_write2_b64 v39, v[14:15], v[24:25] offset0:68 offset1:102
	ds_write_b64 v39, v[10:11] offset:1088
	v_mad_u32_u24 v10, v38, s6, 0
	v_lshlrev_b32_sdwa v11, v29, v31 dst_sel:DWORD dst_unused:UNUSED_PAD src0_sel:DWORD src1_sel:BYTE_0
	v_add_f32_e32 v18, v18, v67
	v_add_f32_e32 v19, v19, v44
	;; [unrolled: 1-line block ×3, first 2 shown]
	v_add3_u32 v10, v10, v11, v52
	v_fmac_f32_e32 v27, 0x3e9e377a, v41
	v_fmac_f32_e32 v9, 0x3e9e377a, v41
	ds_write2_b64 v10, v[18:19], v[22:23] offset1:34
	ds_write2_b64 v10, v[26:27], v[8:9] offset0:68 offset1:102
	ds_write_b64 v10, v[20:21] offset:1088
	s_and_saveexec_b64 s[4:5], vcc
	s_cbranch_execz .LBB0_22
; %bb.21:
	s_movk_i32 s7, 0xf1
	v_mul_lo_u16_sdwa v8, v28, s7 dst_sel:DWORD dst_unused:UNUSED_PAD src0_sel:BYTE_0 src1_sel:DWORD
	v_lshrrev_b16_e32 v16, 13, v8
	v_mul_lo_u16_e32 v8, 34, v16
	v_sub_u16_e32 v17, v28, v8
	v_lshlrev_b32_sdwa v18, v30, v17 dst_sel:DWORD dst_unused:UNUSED_PAD src0_sel:DWORD src1_sel:BYTE_0
	global_load_dwordx4 v[8:11], v18, s[8:9] offset:136
	global_load_dwordx4 v[12:15], v18, s[8:9] offset:152
	v_mov_b32_e32 v18, 3
	v_mad_u32_u24 v16, v16, s6, 0
	v_lshlrev_b32_sdwa v17, v18, v17 dst_sel:DWORD dst_unused:UNUSED_PAD src0_sel:DWORD src1_sel:BYTE_0
	v_add3_u32 v16, v16, v17, v52
	s_waitcnt vmcnt(1)
	v_mul_f32_e32 v17, v2, v9
	v_mul_f32_e32 v18, v4, v11
	s_waitcnt vmcnt(0)
	v_mul_f32_e32 v19, v36, v15
	v_mul_f32_e32 v20, v6, v13
	;; [unrolled: 1-line block ×6, first 2 shown]
	v_fma_f32 v3, v3, v8, -v17
	v_fma_f32 v5, v5, v10, -v18
	v_fma_f32 v17, v37, v14, -v19
	v_fma_f32 v18, v7, v12, -v20
	v_fmac_f32_e32 v11, v4, v10
	v_fmac_f32_e32 v13, v6, v12
	;; [unrolled: 1-line block ×4, first 2 shown]
	v_sub_f32_e32 v2, v3, v5
	v_sub_f32_e32 v4, v17, v18
	v_add_f32_e32 v6, v5, v18
	v_add_f32_e32 v14, v11, v13
	v_sub_f32_e32 v19, v3, v17
	v_sub_f32_e32 v21, v5, v3
	v_add_f32_e32 v23, v3, v17
	v_add_f32_e32 v24, v1, v3
	;; [unrolled: 1-line block ×4, first 2 shown]
	v_fma_f32 v3, -0.5, v6, v1
	v_fma_f32 v2, -0.5, v14, v0
	v_sub_f32_e32 v12, v9, v15
	v_sub_f32_e32 v7, v9, v11
	;; [unrolled: 1-line block ×5, first 2 shown]
	v_add_f32_e32 v9, v0, v9
	v_fma_f32 v1, -0.5, v23, v1
	v_add_f32_e32 v6, v24, v5
	v_fma_f32 v0, -0.5, v27, v0
	v_mov_b32_e32 v5, v3
	v_mov_b32_e32 v4, v2
	v_sub_f32_e32 v10, v11, v13
	v_add_f32_e32 v29, v7, v8
	v_add_f32_e32 v8, v9, v11
	v_mov_b32_e32 v7, v1
	v_add_f32_e32 v9, v6, v18
	v_mov_b32_e32 v6, v0
	v_fmac_f32_e32 v5, 0x3f737871, v12
	v_fmac_f32_e32 v4, 0xbf737871, v19
	v_sub_f32_e32 v22, v18, v17
	v_sub_f32_e32 v26, v13, v15
	v_fmac_f32_e32 v1, 0xbf737871, v10
	v_fmac_f32_e32 v3, 0xbf737871, v12
	;; [unrolled: 1-line block ×4, first 2 shown]
	v_add_f32_e32 v8, v8, v13
	v_fmac_f32_e32 v7, 0x3f737871, v10
	v_fmac_f32_e32 v6, 0xbf737871, v20
	;; [unrolled: 1-line block ×4, first 2 shown]
	v_add_f32_e32 v14, v21, v22
	v_add_f32_e32 v21, v25, v26
	v_fmac_f32_e32 v1, 0x3f167918, v12
	v_fmac_f32_e32 v3, 0xbf167918, v10
	v_add_f32_e32 v9, v9, v17
	v_fmac_f32_e32 v0, 0xbf167918, v19
	v_fmac_f32_e32 v2, 0x3f167918, v20
	;; [unrolled: 3-line block ×3, first 2 shown]
	v_fmac_f32_e32 v5, 0x3e9e377a, v28
	v_fmac_f32_e32 v4, 0x3e9e377a, v29
	v_fmac_f32_e32 v1, 0x3e9e377a, v14
	v_fmac_f32_e32 v3, 0x3e9e377a, v28
	v_fmac_f32_e32 v0, 0x3e9e377a, v21
	v_fmac_f32_e32 v2, 0x3e9e377a, v29
	v_fmac_f32_e32 v7, 0x3e9e377a, v14
	v_fmac_f32_e32 v6, 0x3e9e377a, v21
	ds_write2_b64 v16, v[8:9], v[4:5] offset1:34
	ds_write2_b64 v16, v[0:1], v[6:7] offset0:68 offset1:102
	ds_write_b64 v16, v[2:3] offset:1088
.LBB0_22:
	s_or_b64 exec, exec, s[4:5]
	v_mul_u32_u24_e32 v0, 6, v32
	v_lshlrev_b32_e32 v12, 3, v0
	v_mov_b32_e32 v13, s9
	v_add_co_u32_e32 v16, vcc, s8, v12
	s_movk_i32 s4, 0x1000
	v_addc_co_u32_e32 v17, vcc, 0, v13, vcc
	s_waitcnt lgkmcnt(0)
	s_barrier
	global_load_dwordx4 v[0:3], v12, s[8:9] offset:1224
	global_load_dwordx4 v[4:7], v12, s[8:9] offset:1240
	;; [unrolled: 1-line block ×3, first 2 shown]
	v_add_co_u32_e32 v12, vcc, s4, v16
	s_movk_i32 s5, 0x14b8
	v_addc_co_u32_e32 v13, vcc, 0, v17, vcc
	v_add_co_u32_e32 v24, vcc, s5, v16
	global_load_dwordx4 v[12:15], v[12:13], off offset:1208
	v_addc_co_u32_e32 v25, vcc, 0, v17, vcc
	global_load_dwordx4 v[16:19], v[24:25], off offset:16
	global_load_dwordx4 v[20:23], v[24:25], off offset:32
	v_add_u32_e32 v36, 0x800, v33
	v_add_u32_e32 v44, 0x1400, v33
	ds_read2_b64 v[24:27], v33 offset0:85 offset1:170
	v_add_u32_e32 v57, 0x400, v33
	v_add_u32_e32 v58, 0x1000, v33
	;; [unrolled: 1-line block ×3, first 2 shown]
	ds_read_b64 v[48:49], v51
	ds_read_b64 v[55:56], v33 offset:8840
	ds_read2_b64 v[28:31], v57 offset0:127 offset1:212
	ds_read2_b64 v[36:39], v36 offset0:169 offset1:254
	;; [unrolled: 1-line block ×5, first 2 shown]
	s_mov_b32 s4, 0xbf5ff5aa
	s_mov_b32 s5, 0x3f3bfb3b
	;; [unrolled: 1-line block ×4, first 2 shown]
	s_waitcnt vmcnt(0) lgkmcnt(0)
	s_barrier
	v_mul_f32_e32 v60, v1, v27
	v_mul_f32_e32 v1, v1, v26
	;; [unrolled: 1-line block ×12, first 2 shown]
	v_fmac_f32_e32 v60, v0, v26
	v_fma_f32 v0, v0, v27, -v1
	v_fmac_f32_e32 v61, v2, v30
	v_fma_f32 v1, v2, v31, -v3
	v_fma_f32 v2, v4, v39, -v5
	v_fmac_f32_e32 v63, v6, v42
	v_fma_f32 v3, v6, v43, -v7
	v_fmac_f32_e32 v64, v8, v46
	v_fmac_f32_e32 v65, v53, v10
	v_fma_f32 v5, v54, v10, -v11
	v_mul_f32_e32 v6, v28, v13
	v_mul_f32_e32 v27, v37, v15
	;; [unrolled: 1-line block ×3, first 2 shown]
	v_fmac_f32_e32 v62, v4, v38
	v_fma_f32 v4, v8, v47, -v9
	v_mul_f32_e32 v15, v41, v17
	v_mul_f32_e32 v8, v40, v17
	;; [unrolled: 1-line block ×8, first 2 shown]
	v_fma_f32 v23, v29, v12, -v6
	v_fmac_f32_e32 v27, v36, v14
	v_fma_f32 v14, v37, v14, -v7
	v_add_f32_e32 v6, v60, v65
	v_add_f32_e32 v7, v0, v5
	v_sub_f32_e32 v0, v0, v5
	v_add_f32_e32 v5, v61, v64
	v_fmac_f32_e32 v17, v44, v18
	v_fma_f32 v18, v45, v18, -v9
	v_fmac_f32_e32 v21, v55, v22
	v_fma_f32 v22, v56, v22, -v11
	v_add_f32_e32 v9, v1, v4
	v_sub_f32_e32 v1, v1, v4
	v_add_f32_e32 v4, v62, v63
	v_add_f32_e32 v11, v2, v3
	v_sub_f32_e32 v2, v3, v2
	v_add_f32_e32 v3, v5, v6
	v_mul_f32_e32 v26, v29, v13
	v_add_f32_e32 v13, v9, v7
	v_add_f32_e32 v31, v2, v1
	;; [unrolled: 1-line block ×3, first 2 shown]
	v_fmac_f32_e32 v26, v28, v12
	v_fmac_f32_e32 v19, v51, v20
	v_fma_f32 v20, v52, v20, -v10
	v_sub_f32_e32 v10, v61, v64
	v_sub_f32_e32 v12, v63, v62
	;; [unrolled: 1-line block ×11, first 2 shown]
	v_add_f32_e32 v4, v11, v13
	v_add_f32_e32 v11, v31, v0
	;; [unrolled: 1-line block ×3, first 2 shown]
	v_fmac_f32_e32 v15, v40, v16
	v_fma_f32 v16, v41, v16, -v8
	v_sub_f32_e32 v8, v60, v65
	v_add_f32_e32 v30, v12, v10
	v_sub_f32_e32 v36, v12, v10
	v_add_f32_e32 v1, v4, v49
	v_mov_b32_e32 v40, v0
	v_sub_f32_e32 v12, v8, v12
	v_sub_f32_e32 v10, v10, v8
	v_add_f32_e32 v8, v30, v8
	v_mul_f32_e32 v6, 0x3f4a47b2, v6
	v_mul_f32_e32 v7, 0x3f4a47b2, v7
	v_mul_f32_e32 v13, 0x3d64c772, v5
	v_mul_f32_e32 v30, 0x3d64c772, v9
	v_mul_f32_e32 v31, 0x3f08b237, v36
	v_mul_f32_e32 v36, 0x3f08b237, v37
	v_mul_f32_e32 v39, 0xbf5ff5aa, v38
	v_fmac_f32_e32 v40, 0xbf955555, v3
	v_mov_b32_e32 v3, v1
	v_mul_f32_e32 v37, 0xbf5ff5aa, v10
	v_fmac_f32_e32 v3, 0xbf955555, v4
	v_fma_f32 v4, v28, s5, -v13
	v_fma_f32 v13, v29, s5, -v30
	v_fma_f32 v28, v28, s6, -v6
	v_fmac_f32_e32 v6, 0x3d64c772, v5
	v_fma_f32 v5, v29, s6, -v7
	v_fmac_f32_e32 v7, 0x3d64c772, v9
	v_fma_f32 v9, v10, s4, -v31
	v_fma_f32 v10, v38, s4, -v36
	;; [unrolled: 1-line block ×3, first 2 shown]
	v_fmac_f32_e32 v31, 0xbeae86e6, v12
	v_fma_f32 v12, v12, s7, -v37
	v_add_f32_e32 v38, v4, v40
	v_add_f32_e32 v28, v28, v40
	v_fmac_f32_e32 v10, 0xbee1c552, v11
	v_fmac_f32_e32 v29, 0xbee1c552, v11
	v_add_f32_e32 v30, v6, v40
	v_fmac_f32_e32 v31, 0xbee1c552, v8
	v_fmac_f32_e32 v9, 0xbee1c552, v8
	;; [unrolled: 1-line block ×3, first 2 shown]
	v_add_f32_e32 v4, v29, v28
	v_sub_f32_e32 v6, v38, v10
	v_add_f32_e32 v8, v10, v38
	v_sub_f32_e32 v10, v28, v29
	v_add_f32_e32 v28, v26, v21
	v_add_f32_e32 v29, v23, v22
	v_sub_f32_e32 v22, v23, v22
	v_add_f32_e32 v23, v27, v19
	v_fmac_f32_e32 v36, 0xbeae86e6, v2
	v_sub_f32_e32 v21, v26, v21
	v_add_f32_e32 v26, v14, v20
	v_sub_f32_e32 v14, v14, v20
	v_add_f32_e32 v20, v15, v17
	;; [unrolled: 2-line block ×3, first 2 shown]
	v_add_f32_e32 v37, v7, v3
	v_add_f32_e32 v13, v13, v3
	v_add_f32_e32 v39, v5, v3
	v_fmac_f32_e32 v36, 0xbee1c552, v11
	v_sub_f32_e32 v19, v27, v19
	v_add_f32_e32 v27, v16, v18
	v_sub_f32_e32 v16, v18, v16
	v_add_f32_e32 v18, v26, v29
	v_add_f32_e32 v17, v20, v17
	;; [unrolled: 1-line block ×3, first 2 shown]
	v_sub_f32_e32 v3, v37, v31
	v_sub_f32_e32 v5, v39, v12
	v_add_f32_e32 v7, v9, v13
	v_sub_f32_e32 v9, v13, v9
	v_add_f32_e32 v11, v12, v39
	;; [unrolled: 2-line block ×3, first 2 shown]
	v_sub_f32_e32 v30, v23, v28
	v_sub_f32_e32 v28, v28, v20
	v_add_f32_e32 v36, v15, v19
	v_add_f32_e32 v37, v16, v14
	v_sub_f32_e32 v38, v15, v19
	v_sub_f32_e32 v39, v16, v14
	;; [unrolled: 1-line block ×3, first 2 shown]
	v_add_f32_e32 v18, v27, v18
	v_add_f32_e32 v14, v17, v24
	v_sub_f32_e32 v31, v26, v29
	v_sub_f32_e32 v29, v29, v27
	v_sub_f32_e32 v23, v20, v23
	v_sub_f32_e32 v26, v27, v26
	v_sub_f32_e32 v40, v21, v15
	v_sub_f32_e32 v16, v22, v16
	v_sub_f32_e32 v19, v19, v21
	v_add_f32_e32 v20, v36, v21
	v_add_f32_e32 v21, v37, v22
	;; [unrolled: 1-line block ×3, first 2 shown]
	v_mul_f32_e32 v22, 0x3f4a47b2, v28
	v_mul_f32_e32 v28, 0x3f08b237, v38
	v_mov_b32_e32 v38, v14
	v_mul_f32_e32 v24, 0x3f4a47b2, v29
	v_mul_f32_e32 v25, 0x3d64c772, v23
	;; [unrolled: 1-line block ×6, first 2 shown]
	v_fmac_f32_e32 v38, 0xbf955555, v17
	v_mov_b32_e32 v17, v15
	v_fmac_f32_e32 v17, 0xbf955555, v18
	v_fma_f32 v18, v30, s5, -v25
	v_fma_f32 v25, v31, s5, -v27
	;; [unrolled: 1-line block ×3, first 2 shown]
	v_fmac_f32_e32 v22, 0x3d64c772, v23
	v_fma_f32 v23, v31, s6, -v24
	v_fmac_f32_e32 v24, 0x3d64c772, v26
	v_fma_f32 v26, v19, s4, -v28
	;; [unrolled: 2-line block ×4, first 2 shown]
	v_fma_f32 v36, v16, s7, -v37
	v_add_f32_e32 v37, v22, v38
	v_add_f32_e32 v39, v24, v17
	;; [unrolled: 1-line block ×5, first 2 shown]
	v_fmac_f32_e32 v28, 0xbee1c552, v20
	v_fmac_f32_e32 v29, 0xbee1c552, v21
	;; [unrolled: 1-line block ×4, first 2 shown]
	ds_write2_b64 v57, v[2:3], v[4:5] offset0:42 offset1:212
	v_add_u32_e32 v2, 0xe00, v33
	v_add_f32_e32 v22, v18, v38
	v_fmac_f32_e32 v26, 0xbee1c552, v20
	v_fmac_f32_e32 v30, 0xbee1c552, v21
	v_add_f32_e32 v16, v29, v37
	v_sub_f32_e32 v17, v39, v28
	v_add_f32_e32 v18, v36, v25
	v_sub_f32_e32 v19, v27, v31
	ds_write2_b64 v2, v[6:7], v[8:9] offset0:62 offset1:232
	ds_write2_b64 v59, v[10:11], v[12:13] offset0:82 offset1:252
	ds_write2_b64 v33, v[0:1], v[14:15] offset1:85
	v_add_u32_e32 v0, 0x600, v33
	v_sub_f32_e32 v20, v22, v30
	v_add_f32_e32 v21, v26, v24
	v_add_f32_e32 v22, v30, v22
	v_sub_f32_e32 v23, v24, v26
	v_sub_f32_e32 v24, v25, v36
	v_add_f32_e32 v25, v31, v27
	v_sub_f32_e32 v26, v37, v29
	v_add_f32_e32 v27, v28, v39
	ds_write2_b64 v0, v[16:17], v[18:19] offset0:63 offset1:233
	ds_write2_b64 v58, v[20:21], v[22:23] offset0:83 offset1:253
	v_add_u32_e32 v0, 0x1c00, v33
	ds_write2_b64 v0, v[24:25], v[26:27] offset0:39 offset1:209
	s_waitcnt lgkmcnt(0)
	s_barrier
	s_and_saveexec_b64 s[4:5], s[0:1]
	s_cbranch_execz .LBB0_24
; %bb.23:
	v_lshl_add_u32 v6, v32, 3, v50
	v_mov_b32_e32 v33, 0
	ds_read2_b64 v[0:3], v6 offset1:85
	v_mov_b32_e32 v4, s3
	v_add_co_u32_e32 v7, vcc, s2, v34
	v_addc_co_u32_e32 v8, vcc, v4, v35, vcc
	v_lshlrev_b64 v[4:5], 3, v[32:33]
	v_add_co_u32_e32 v4, vcc, v7, v4
	v_addc_co_u32_e32 v5, vcc, v8, v5, vcc
	s_waitcnt lgkmcnt(0)
	global_store_dwordx2 v[4:5], v[0:1], off
	v_add_u32_e32 v0, 0x55, v32
	v_mov_b32_e32 v1, v33
	v_lshlrev_b64 v[0:1], 3, v[0:1]
	v_add_u32_e32 v4, 0xaa, v32
	v_add_co_u32_e32 v0, vcc, v7, v0
	v_addc_co_u32_e32 v1, vcc, v8, v1, vcc
	global_store_dwordx2 v[0:1], v[2:3], off
	v_mov_b32_e32 v5, v33
	ds_read2_b64 v[0:3], v6 offset0:170 offset1:255
	v_lshlrev_b64 v[4:5], 3, v[4:5]
	v_add_co_u32_e32 v4, vcc, v7, v4
	v_addc_co_u32_e32 v5, vcc, v8, v5, vcc
	s_waitcnt lgkmcnt(0)
	global_store_dwordx2 v[4:5], v[0:1], off
	v_add_u32_e32 v0, 0xff, v32
	v_mov_b32_e32 v1, v33
	v_lshlrev_b64 v[0:1], 3, v[0:1]
	v_add_u32_e32 v4, 0x154, v32
	v_add_co_u32_e32 v0, vcc, v7, v0
	v_addc_co_u32_e32 v1, vcc, v8, v1, vcc
	global_store_dwordx2 v[0:1], v[2:3], off
	v_add_u32_e32 v0, 0x800, v6
	v_mov_b32_e32 v5, v33
	ds_read2_b64 v[0:3], v0 offset0:84 offset1:169
	v_lshlrev_b64 v[4:5], 3, v[4:5]
	v_add_co_u32_e32 v4, vcc, v7, v4
	v_addc_co_u32_e32 v5, vcc, v8, v5, vcc
	s_waitcnt lgkmcnt(0)
	global_store_dwordx2 v[4:5], v[0:1], off
	v_add_u32_e32 v0, 0x1a9, v32
	v_mov_b32_e32 v1, v33
	v_lshlrev_b64 v[0:1], 3, v[0:1]
	v_add_u32_e32 v4, 0x1fe, v32
	v_add_co_u32_e32 v0, vcc, v7, v0
	v_addc_co_u32_e32 v1, vcc, v8, v1, vcc
	global_store_dwordx2 v[0:1], v[2:3], off
	v_add_u32_e32 v0, 0xc00, v6
	v_mov_b32_e32 v5, v33
	ds_read2_b64 v[0:3], v0 offset0:126 offset1:211
	v_lshlrev_b64 v[4:5], 3, v[4:5]
	v_add_co_u32_e32 v4, vcc, v7, v4
	v_addc_co_u32_e32 v5, vcc, v8, v5, vcc
	s_waitcnt lgkmcnt(0)
	global_store_dwordx2 v[4:5], v[0:1], off
	v_add_u32_e32 v0, 0x253, v32
	v_mov_b32_e32 v1, v33
	v_lshlrev_b64 v[0:1], 3, v[0:1]
	v_add_u32_e32 v4, 0x2a8, v32
	v_add_co_u32_e32 v0, vcc, v7, v0
	v_addc_co_u32_e32 v1, vcc, v8, v1, vcc
	global_store_dwordx2 v[0:1], v[2:3], off
	v_add_u32_e32 v0, 0x1000, v6
	v_mov_b32_e32 v5, v33
	ds_read2_b64 v[0:3], v0 offset0:168 offset1:253
	v_lshlrev_b64 v[4:5], 3, v[4:5]
	v_add_co_u32_e32 v4, vcc, v7, v4
	v_addc_co_u32_e32 v5, vcc, v8, v5, vcc
	s_waitcnt lgkmcnt(0)
	global_store_dwordx2 v[4:5], v[0:1], off
	v_add_u32_e32 v0, 0x2fd, v32
	v_mov_b32_e32 v1, v33
	v_lshlrev_b64 v[0:1], 3, v[0:1]
	v_add_u32_e32 v4, 0x352, v32
	v_add_co_u32_e32 v0, vcc, v7, v0
	v_addc_co_u32_e32 v1, vcc, v8, v1, vcc
	global_store_dwordx2 v[0:1], v[2:3], off
	v_add_u32_e32 v0, 0x1800, v6
	v_mov_b32_e32 v5, v33
	ds_read2_b64 v[0:3], v0 offset0:82 offset1:167
	v_lshlrev_b64 v[4:5], 3, v[4:5]
	v_add_co_u32_e32 v4, vcc, v7, v4
	v_addc_co_u32_e32 v5, vcc, v8, v5, vcc
	s_waitcnt lgkmcnt(0)
	global_store_dwordx2 v[4:5], v[0:1], off
	v_add_u32_e32 v0, 0x3a7, v32
	v_mov_b32_e32 v1, v33
	v_lshlrev_b64 v[0:1], 3, v[0:1]
	v_add_u32_e32 v4, 0x3fc, v32
	v_add_co_u32_e32 v0, vcc, v7, v0
	v_addc_co_u32_e32 v1, vcc, v8, v1, vcc
	global_store_dwordx2 v[0:1], v[2:3], off
	v_add_u32_e32 v0, 0x1c00, v6
	v_mov_b32_e32 v5, v33
	ds_read2_b64 v[0:3], v0 offset0:124 offset1:209
	v_lshlrev_b64 v[4:5], 3, v[4:5]
	v_add_u32_e32 v32, 0x451, v32
	v_add_co_u32_e32 v4, vcc, v7, v4
	v_addc_co_u32_e32 v5, vcc, v8, v5, vcc
	s_waitcnt lgkmcnt(0)
	global_store_dwordx2 v[4:5], v[0:1], off
	v_lshlrev_b64 v[0:1], 3, v[32:33]
	v_add_co_u32_e32 v0, vcc, v7, v0
	v_addc_co_u32_e32 v1, vcc, v8, v1, vcc
	global_store_dwordx2 v[0:1], v[2:3], off
.LBB0_24:
	s_endpgm
	.section	.rodata,"a",@progbits
	.p2align	6, 0x0
	.amdhsa_kernel fft_rtc_back_len1190_factors_17_2_5_7_wgs_255_tpt_85_halfLds_sp_ip_CI_unitstride_sbrr_C2R_dirReg
		.amdhsa_group_segment_fixed_size 0
		.amdhsa_private_segment_fixed_size 0
		.amdhsa_kernarg_size 88
		.amdhsa_user_sgpr_count 6
		.amdhsa_user_sgpr_private_segment_buffer 1
		.amdhsa_user_sgpr_dispatch_ptr 0
		.amdhsa_user_sgpr_queue_ptr 0
		.amdhsa_user_sgpr_kernarg_segment_ptr 1
		.amdhsa_user_sgpr_dispatch_id 0
		.amdhsa_user_sgpr_flat_scratch_init 0
		.amdhsa_user_sgpr_private_segment_size 0
		.amdhsa_uses_dynamic_stack 0
		.amdhsa_system_sgpr_private_segment_wavefront_offset 0
		.amdhsa_system_sgpr_workgroup_id_x 1
		.amdhsa_system_sgpr_workgroup_id_y 0
		.amdhsa_system_sgpr_workgroup_id_z 0
		.amdhsa_system_sgpr_workgroup_info 0
		.amdhsa_system_vgpr_workitem_id 0
		.amdhsa_next_free_vgpr 141
		.amdhsa_next_free_sgpr 22
		.amdhsa_reserve_vcc 1
		.amdhsa_reserve_flat_scratch 0
		.amdhsa_float_round_mode_32 0
		.amdhsa_float_round_mode_16_64 0
		.amdhsa_float_denorm_mode_32 3
		.amdhsa_float_denorm_mode_16_64 3
		.amdhsa_dx10_clamp 1
		.amdhsa_ieee_mode 1
		.amdhsa_fp16_overflow 0
		.amdhsa_exception_fp_ieee_invalid_op 0
		.amdhsa_exception_fp_denorm_src 0
		.amdhsa_exception_fp_ieee_div_zero 0
		.amdhsa_exception_fp_ieee_overflow 0
		.amdhsa_exception_fp_ieee_underflow 0
		.amdhsa_exception_fp_ieee_inexact 0
		.amdhsa_exception_int_div_zero 0
	.end_amdhsa_kernel
	.text
.Lfunc_end0:
	.size	fft_rtc_back_len1190_factors_17_2_5_7_wgs_255_tpt_85_halfLds_sp_ip_CI_unitstride_sbrr_C2R_dirReg, .Lfunc_end0-fft_rtc_back_len1190_factors_17_2_5_7_wgs_255_tpt_85_halfLds_sp_ip_CI_unitstride_sbrr_C2R_dirReg
                                        ; -- End function
	.section	.AMDGPU.csdata,"",@progbits
; Kernel info:
; codeLenInByte = 12384
; NumSgprs: 26
; NumVgprs: 141
; ScratchSize: 0
; MemoryBound: 0
; FloatMode: 240
; IeeeMode: 1
; LDSByteSize: 0 bytes/workgroup (compile time only)
; SGPRBlocks: 3
; VGPRBlocks: 35
; NumSGPRsForWavesPerEU: 26
; NumVGPRsForWavesPerEU: 141
; Occupancy: 1
; WaveLimiterHint : 1
; COMPUTE_PGM_RSRC2:SCRATCH_EN: 0
; COMPUTE_PGM_RSRC2:USER_SGPR: 6
; COMPUTE_PGM_RSRC2:TRAP_HANDLER: 0
; COMPUTE_PGM_RSRC2:TGID_X_EN: 1
; COMPUTE_PGM_RSRC2:TGID_Y_EN: 0
; COMPUTE_PGM_RSRC2:TGID_Z_EN: 0
; COMPUTE_PGM_RSRC2:TIDIG_COMP_CNT: 0
	.type	__hip_cuid_cd9bea57c188f74c,@object ; @__hip_cuid_cd9bea57c188f74c
	.section	.bss,"aw",@nobits
	.globl	__hip_cuid_cd9bea57c188f74c
__hip_cuid_cd9bea57c188f74c:
	.byte	0                               ; 0x0
	.size	__hip_cuid_cd9bea57c188f74c, 1

	.ident	"AMD clang version 19.0.0git (https://github.com/RadeonOpenCompute/llvm-project roc-6.4.0 25133 c7fe45cf4b819c5991fe208aaa96edf142730f1d)"
	.section	".note.GNU-stack","",@progbits
	.addrsig
	.addrsig_sym __hip_cuid_cd9bea57c188f74c
	.amdgpu_metadata
---
amdhsa.kernels:
  - .args:
      - .actual_access:  read_only
        .address_space:  global
        .offset:         0
        .size:           8
        .value_kind:     global_buffer
      - .offset:         8
        .size:           8
        .value_kind:     by_value
      - .actual_access:  read_only
        .address_space:  global
        .offset:         16
        .size:           8
        .value_kind:     global_buffer
      - .actual_access:  read_only
        .address_space:  global
        .offset:         24
        .size:           8
        .value_kind:     global_buffer
      - .offset:         32
        .size:           8
        .value_kind:     by_value
      - .actual_access:  read_only
        .address_space:  global
        .offset:         40
        .size:           8
        .value_kind:     global_buffer
      - .actual_access:  read_only
        .address_space:  global
        .offset:         48
        .size:           8
        .value_kind:     global_buffer
      - .offset:         56
        .size:           4
        .value_kind:     by_value
      - .actual_access:  read_only
        .address_space:  global
        .offset:         64
        .size:           8
        .value_kind:     global_buffer
      - .actual_access:  read_only
        .address_space:  global
        .offset:         72
        .size:           8
        .value_kind:     global_buffer
      - .address_space:  global
        .offset:         80
        .size:           8
        .value_kind:     global_buffer
    .group_segment_fixed_size: 0
    .kernarg_segment_align: 8
    .kernarg_segment_size: 88
    .language:       OpenCL C
    .language_version:
      - 2
      - 0
    .max_flat_workgroup_size: 255
    .name:           fft_rtc_back_len1190_factors_17_2_5_7_wgs_255_tpt_85_halfLds_sp_ip_CI_unitstride_sbrr_C2R_dirReg
    .private_segment_fixed_size: 0
    .sgpr_count:     26
    .sgpr_spill_count: 0
    .symbol:         fft_rtc_back_len1190_factors_17_2_5_7_wgs_255_tpt_85_halfLds_sp_ip_CI_unitstride_sbrr_C2R_dirReg.kd
    .uniform_work_group_size: 1
    .uses_dynamic_stack: false
    .vgpr_count:     141
    .vgpr_spill_count: 0
    .wavefront_size: 64
amdhsa.target:   amdgcn-amd-amdhsa--gfx906
amdhsa.version:
  - 1
  - 2
...

	.end_amdgpu_metadata
